;; amdgpu-corpus repo=zjin-lcf/HeCBench kind=compiled arch=gfx1250 opt=O3
	.amdgcn_target "amdgcn-amd-amdhsa--gfx1250"
	.amdhsa_code_object_version 6
	.text
	.protected	_Z24groupnorm_forward_kernelPKfS0_S0_PfS1_S1_iiiii ; -- Begin function _Z24groupnorm_forward_kernelPKfS0_S0_PfS1_S1_iiiii
	.globl	_Z24groupnorm_forward_kernelPKfS0_S0_PfS1_S1_iiiii
	.p2align	8
	.type	_Z24groupnorm_forward_kernelPKfS0_S0_PfS1_S1_iiiii,@function
_Z24groupnorm_forward_kernelPKfS0_S0_PfS1_S1_iiiii: ; @_Z24groupnorm_forward_kernelPKfS0_S0_PfS1_S1_iiiii
; %bb.0:
	s_clause 0x2
	s_load_b96 s[12:14], s[0:1], 0x38
	s_load_b32 s2, s[0:1], 0x54
	s_load_b64 s[4:5], s[0:1], 0x0
	s_and_b32 s6, ttmp6, 15
	s_getreg_b32 s8, hwreg(HW_REG_IB_STS2, 6, 4)
	v_mov_b32_e32 v3, 0
	s_mov_b32 s19, 0
	s_delay_alu instid0(SALU_CYCLE_1) | instskip(SKIP_1) | instid1(VALU_DEP_1)
	s_mov_b32 s7, s19
	s_mov_b32 s25, s19
	v_mov_b32_e32 v2, v3
	s_wait_kmcnt 0x0
	s_cvt_f32_u32 s3, s14
	s_mul_i32 s26, s13, s12
	s_delay_alu instid0(SALU_CYCLE_2) | instskip(SKIP_1) | instid1(SALU_CYCLE_1)
	v_rcp_iflag_f32_e32 v1, s3
	s_bfe_u32 s3, ttmp6, 0x4000c
	s_add_co_i32 s3, s3, 1
	s_delay_alu instid0(SALU_CYCLE_1) | instskip(NEXT) | instid1(SALU_CYCLE_1)
	s_mul_i32 s3, ttmp9, s3
	s_add_co_i32 s6, s6, s3
	v_nop
	s_delay_alu instid0(TRANS32_DEP_1)
	v_readfirstlane_b32 s9, v1
	s_cmp_eq_u32 s8, 0
	s_cselect_b32 s18, ttmp9, s6
	s_and_b32 s15, s2, 0xffff
	s_mul_f32 s3, s9, 0x4f7ffffe
	s_sub_co_i32 s2, 0, s14
	s_mul_i32 s6, s26, s18
	s_delay_alu instid0(SALU_CYCLE_1) | instskip(SKIP_1) | instid1(SALU_CYCLE_1)
	s_cvt_u32_f32 s3, s3
	s_lshl_b64 s[20:21], s[6:7], 2
	s_add_nc_u64 s[16:17], s[4:5], s[20:21]
	s_delay_alu instid0(SALU_CYCLE_1) | instskip(SKIP_2) | instid1(SALU_CYCLE_1)
	s_mul_i32 s8, s2, s3
	v_cmp_gt_i32_e64 s2, s26, v0
	s_mul_hi_u32 s8, s3, s8
	s_add_co_i32 s24, s3, s8
	s_and_saveexec_b32 s3, s2
	s_cbranch_execz .LBB0_4
; %bb.1:
	v_dual_mov_b32 v2, 0 :: v_dual_mov_b32 v1, v0
	s_mov_b32 s4, s19
	s_delay_alu instid0(VALU_DEP_1)
	v_mov_b32_e32 v3, v2
.LBB0_2:                                ; =>This Inner Loop Header: Depth=1
	global_load_b32 v5, v1, s[16:17] scale_offset
	s_wait_xcnt 0x0
	v_add_nc_u32_e32 v1, s15, v1
	s_delay_alu instid0(VALU_DEP_1) | instskip(SKIP_3) | instid1(VALU_DEP_1)
	v_cmp_le_i32_e32 vcc_lo, s26, v1
	s_or_b32 s4, vcc_lo, s4
	s_wait_loadcnt 0x0
	v_mul_f32_e32 v4, v5, v5
	v_pk_add_f32 v[2:3], v[2:3], v[4:5]
	s_and_not1_b32 exec_lo, exec_lo, s4
	s_cbranch_execnz .LBB0_2
; %bb.3:
	s_or_b32 exec_lo, exec_lo, s4
.LBB0_4:
	s_delay_alu instid0(SALU_CYCLE_1)
	s_or_b32 exec_lo, exec_lo, s3
	v_mbcnt_lo_u32_b32 v7, -1, 0
	s_clause 0x1
	s_load_b256 s[4:11], s[0:1], 0x8
	s_load_b64 s[22:23], s[0:1], 0x28
	s_wait_xcnt 0x0
	s_mul_u64 s[0:1], s[18:19], s[24:25]
	s_lshr_b32 s0, s15, 5
	v_and_b32_e32 v11, 31, v0
	v_xor_b32_e32 v4, 8, v7
	v_xor_b32_e32 v1, 16, v7
	;; [unrolled: 1-line block ×3, first 2 shown]
	s_delay_alu instid0(VALU_DEP_2) | instskip(SKIP_3) | instid1(VALU_DEP_1)
	v_cmp_gt_i32_e32 vcc_lo, 32, v1
	v_cndmask_b32_e32 v1, v7, v1, vcc_lo
	v_cmp_gt_i32_e32 vcc_lo, 32, v4
	v_cndmask_b32_e32 v4, v7, v4, vcc_lo
	v_dual_lshlrev_b32 v4, 2, v4 :: v_dual_lshlrev_b32 v1, 2, v1
	ds_bpermute_b32 v6, v1, v2
	s_wait_dscnt 0x0
	v_add_f32_e32 v2, v2, v6
	ds_bpermute_b32 v5, v1, v3
	ds_bpermute_b32 v8, v4, v2
	s_wait_dscnt 0x0
	v_dual_add_f32 v3, v3, v5 :: v_dual_add_f32 v2, v2, v8
	ds_bpermute_b32 v6, v4, v3
	s_wait_dscnt 0x0
	v_dual_add_f32 v3, v3, v6 :: v_dual_bitop2_b32 v5, 4, v7 bitop3:0x14
	s_delay_alu instid0(VALU_DEP_1) | instskip(SKIP_1) | instid1(VALU_DEP_1)
	v_cmp_gt_i32_e32 vcc_lo, 32, v5
	v_dual_cndmask_b32 v5, v7, v5, vcc_lo :: v_dual_bitop2_b32 v6, 2, v7 bitop3:0x14
	v_cmp_gt_i32_e32 vcc_lo, 32, v6
	s_delay_alu instid0(VALU_DEP_2)
	v_lshlrev_b32_e32 v5, 2, v5
	ds_bpermute_b32 v9, v5, v2
	ds_bpermute_b32 v8, v5, v3
	v_cndmask_b32_e32 v6, v7, v6, vcc_lo
	v_cmp_gt_i32_e32 vcc_lo, 32, v10
	s_wait_dscnt 0x1
	s_delay_alu instid0(VALU_DEP_2)
	v_dual_add_f32 v2, v2, v9 :: v_dual_lshlrev_b32 v6, 2, v6
	s_wait_dscnt 0x0
	v_add_f32_e32 v3, v3, v8
	ds_bpermute_b32 v9, v6, v2
	v_cndmask_b32_e32 v7, v7, v10, vcc_lo
	ds_bpermute_b32 v8, v6, v3
	v_lshrrev_b32_e32 v10, 3, v0
	v_cmp_gt_u32_e32 vcc_lo, s0, v11
	s_delay_alu instid0(VALU_DEP_2)
	v_and_b32_e32 v10, 0x7c, v10
	s_wait_dscnt 0x1
	v_dual_add_f32 v2, v2, v9 :: v_dual_lshlrev_b32 v7, 2, v7
	ds_bpermute_b32 v9, v7, v2
	s_wait_dscnt 0x0
	v_dual_add_f32 v3, v3, v8 :: v_dual_add_f32 v9, v2, v9
	ds_bpermute_b32 v8, v7, v3
	s_wait_dscnt 0x0
	v_dual_mov_b32 v2, 0 :: v_dual_add_f32 v12, v3, v8
	v_dual_mov_b32 v3, 0 :: v_dual_lshlrev_b32 v8, 2, v11
	ds_store_2addr_b32 v10, v12, v9 offset1:32
	s_wait_dscnt 0x0
	s_barrier_signal -1
	s_barrier_wait -1
	s_and_saveexec_b32 s0, vcc_lo
; %bb.5:
	ds_load_b32 v3, v8
; %bb.6:
	s_or_b32 exec_lo, exec_lo, s0
	s_and_saveexec_b32 s0, vcc_lo
; %bb.7:
	ds_load_b32 v2, v8 offset:128
; %bb.8:
	s_or_b32 exec_lo, exec_lo, s0
	s_wait_dscnt 0x0
	ds_bpermute_b32 v9, v1, v3
	ds_bpermute_b32 v8, v1, v2
	s_cvt_f32_i32 s3, s26
	s_wait_kmcnt 0x0
	s_cmp_lg_u64 s[10:11], 0
	s_wait_dscnt 0x0
	v_pk_add_f32 v[2:3], v[2:3], v[8:9]
	ds_bpermute_b32 v9, v4, v3
	ds_bpermute_b32 v8, v4, v2
	s_wait_dscnt 0x0
	v_pk_add_f32 v[2:3], v[2:3], v[8:9]
	ds_bpermute_b32 v9, v5, v3
	ds_bpermute_b32 v8, v5, v2
	;; [unrolled: 4-line block ×4, first 2 shown]
	s_wait_dscnt 0x0
	v_pk_add_f32 v[2:3], v[2:3], v[4:5]
	s_delay_alu instid0(VALU_DEP_1) | instskip(NEXT) | instid1(VALU_DEP_2)
	v_div_scale_f32 v1, null, s3, s3, v3
	v_div_scale_f32 v4, null, s3, s3, v2
	v_div_scale_f32 v9, vcc_lo, v3, s3, v3
	s_delay_alu instid0(VALU_DEP_3) | instskip(NEXT) | instid1(VALU_DEP_2)
	v_rcp_f32_e32 v5, v1
	v_rcp_f32_e32 v6, v4
	s_delay_alu instid0(TRANS32_DEP_2) | instskip(NEXT) | instid1(TRANS32_DEP_1)
	v_fma_f32 v7, -v1, v5, 1.0
	v_fma_f32 v8, -v4, v6, 1.0
	s_delay_alu instid0(VALU_DEP_1) | instskip(SKIP_1) | instid1(VALU_DEP_1)
	v_dual_fmac_f32 v5, v7, v5 :: v_dual_fmac_f32 v6, v8, v6
	v_div_scale_f32 v7, s0, v2, s3, v2
	v_dual_mul_f32 v8, v9, v5 :: v_dual_mul_f32 v10, v7, v6
	s_delay_alu instid0(VALU_DEP_1) | instskip(NEXT) | instid1(VALU_DEP_1)
	v_dual_fma_f32 v11, -v1, v8, v9 :: v_dual_fma_f32 v12, -v4, v10, v7
	v_dual_fmac_f32 v8, v11, v5 :: v_dual_fmac_f32 v10, v12, v6
	s_delay_alu instid0(VALU_DEP_1) | instskip(NEXT) | instid1(VALU_DEP_1)
	v_dual_fma_f32 v1, -v1, v8, v9 :: v_dual_fma_f32 v4, -v4, v10, v7
	v_div_fmas_f32 v1, v1, v5, v8
	s_mov_b32 vcc_lo, s0
	s_cselect_b32 s0, -1, 0
	s_delay_alu instid0(VALU_DEP_2) | instskip(SKIP_2) | instid1(VALU_DEP_3)
	v_div_fmas_f32 v4, v4, v6, v10
	v_cmp_eq_u32_e32 vcc_lo, 0, v0
	v_div_fixup_f32 v1, v1, s3, v3
	v_div_fixup_f32 v2, v4, s3, v2
	s_and_b32 s3, vcc_lo, s0
	s_delay_alu instid0(SALU_CYCLE_1)
	s_and_saveexec_b32 s0, s3
	s_cbranch_execz .LBB0_10
; %bb.9:
	v_mov_b32_e32 v3, 0
	s_lshl_b64 s[24:25], s[18:19], 2
	s_delay_alu instid0(SALU_CYCLE_1)
	s_add_nc_u64 s[10:11], s[10:11], s[24:25]
	global_store_b32 v3, v1, s[10:11]
.LBB0_10:
	s_wait_xcnt 0x0
	s_or_b32 exec_lo, exec_lo, s0
	v_fma_f32 v2, -v1, v1, v2
	s_cmp_lg_u64 s[22:23], 0
	s_delay_alu instid0(VALU_DEP_1) | instskip(NEXT) | instid1(VALU_DEP_1)
	v_add_f32_e32 v2, 0x3727c5ac, v2
	v_mul_f32_e32 v3, 0x4b800000, v2
	v_cmp_gt_f32_e64 s0, 0x800000, v2
	s_delay_alu instid0(VALU_DEP_1) | instskip(NEXT) | instid1(VALU_DEP_1)
	v_cndmask_b32_e64 v2, v2, v3, s0
	v_rsq_f32_e32 v2, v2
	v_nop
	s_delay_alu instid0(TRANS32_DEP_1) | instskip(NEXT) | instid1(VALU_DEP_1)
	v_mul_f32_e32 v3, 0x45800000, v2
	v_cndmask_b32_e64 v4, v2, v3, s0
	s_cselect_b32 s0, -1, 0
	s_delay_alu instid0(SALU_CYCLE_1) | instskip(NEXT) | instid1(SALU_CYCLE_1)
	s_and_b32 s3, vcc_lo, s0
	s_and_saveexec_b32 s0, s3
	s_cbranch_execz .LBB0_12
; %bb.11:
	v_mov_b32_e32 v2, 0
	s_lshl_b64 s[10:11], s[18:19], 2
	s_delay_alu instid0(SALU_CYCLE_1)
	s_add_nc_u64 s[10:11], s[22:23], s[10:11]
	global_store_b32 v2, v4, s[10:11]
.LBB0_12:
	s_wait_xcnt 0x0
	s_or_b32 exec_lo, exec_lo, s0
	s_and_saveexec_b32 s0, s2
	s_cbranch_execz .LBB0_15
; %bb.13:
	s_mul_i32 s0, s1, s14
	v_mov_b32_e32 v3, 0
	s_sub_co_i32 s0, s18, s0
	s_mov_b32 s3, 0
	s_sub_co_i32 s1, s0, s14
	s_cmp_ge_u32 s0, s14
	s_cselect_b32 s0, s1, s0
	s_delay_alu instid0(SALU_CYCLE_1) | instskip(SKIP_3) | instid1(SALU_CYCLE_1)
	s_sub_co_i32 s1, s0, s14
	s_cmp_ge_u32 s0, s14
	s_cselect_b32 s2, s1, s0
	s_abs_i32 s10, s12
	s_cvt_f32_u32 s0, s10
	s_delay_alu instid0(SALU_CYCLE_3) | instskip(SKIP_3) | instid1(SALU_CYCLE_1)
	v_rcp_iflag_f32_e32 v2, s0
	s_add_nc_u64 s[0:1], s[8:9], s[20:21]
	s_ashr_i32 s8, s12, 31
	s_mul_i32 s12, s2, s13
	s_ashr_i32 s13, s12, 31
	v_nop
	s_delay_alu instid0(TRANS32_DEP_1) | instskip(SKIP_1) | instid1(SALU_CYCLE_1)
	v_readfirstlane_b32 s11, v2
	s_lshl_b64 s[12:13], s[12:13], 2
	s_add_nc_u64 s[4:5], s[4:5], s[12:13]
	s_add_nc_u64 s[6:7], s[6:7], s[12:13]
	s_mul_f32 s9, s11, 0x4f7ffffe
	s_delay_alu instid0(SALU_CYCLE_3) | instskip(SKIP_1) | instid1(SALU_CYCLE_2)
	s_cvt_u32_f32 s2, s9
	s_sub_co_i32 s9, 0, s10
	s_mul_i32 s9, s9, s2
	s_delay_alu instid0(SALU_CYCLE_1) | instskip(NEXT) | instid1(SALU_CYCLE_1)
	s_mul_hi_u32 s9, s2, s9
	s_add_co_i32 s2, s2, s9
	s_mov_b32 s9, s3
.LBB0_14:                               ; =>This Inner Loop Header: Depth=1
	v_sub_nc_u32_e32 v2, 0, v0
	s_delay_alu instid0(VALU_DEP_1) | instskip(NEXT) | instid1(VALU_DEP_1)
	v_max_i32_e32 v2, v0, v2
	v_mul_u64_e32 v[6:7], s[2:3], v[2:3]
	s_delay_alu instid0(VALU_DEP_1) | instskip(NEXT) | instid1(VALU_DEP_1)
	v_mul_lo_u32 v5, v7, s10
	v_dual_add_nc_u32 v6, 1, v7 :: v_dual_sub_nc_u32 v2, v2, v5
	s_delay_alu instid0(VALU_DEP_1) | instskip(NEXT) | instid1(VALU_DEP_2)
	v_cmp_le_u32_e32 vcc_lo, s10, v2
	v_cndmask_b32_e32 v6, v7, v6, vcc_lo
	v_subrev_nc_u32_e32 v5, s10, v2
	s_delay_alu instid0(VALU_DEP_1) | instskip(NEXT) | instid1(VALU_DEP_3)
	v_dual_cndmask_b32 v2, v2, v5 :: v_dual_ashrrev_i32 v7, 31, v0
	v_add_nc_u32_e32 v5, 1, v6
	s_delay_alu instid0(VALU_DEP_2) | instskip(NEXT) | instid1(VALU_DEP_2)
	v_cmp_le_u32_e32 vcc_lo, s10, v2
	v_dual_cndmask_b32 v2, v6, v5, vcc_lo :: v_dual_bitop2_b32 v7, s8, v7 bitop3:0x14
	global_load_b32 v5, v0, s[16:17] scale_offset
	v_xor_b32_e32 v2, v2, v7
	s_delay_alu instid0(VALU_DEP_1)
	v_sub_nc_u32_e32 v2, v2, v7
	s_clause 0x1
	global_load_b32 v6, v2, s[4:5] scale_offset
	global_load_b32 v7, v2, s[6:7] scale_offset
	s_wait_loadcnt 0x2
	s_wait_xcnt 0x0
	v_sub_f32_e32 v2, v5, v1
	s_delay_alu instid0(VALU_DEP_1) | instskip(SKIP_1) | instid1(VALU_DEP_1)
	v_mul_f32_e32 v2, v4, v2
	s_wait_loadcnt 0x0
	v_fmac_f32_e32 v7, v6, v2
	global_store_b32 v0, v7, s[0:1] scale_offset
	s_wait_xcnt 0x0
	v_add_nc_u32_e32 v0, s15, v0
	s_delay_alu instid0(VALU_DEP_1) | instskip(SKIP_1) | instid1(SALU_CYCLE_1)
	v_cmp_le_i32_e32 vcc_lo, s26, v0
	s_or_b32 s9, vcc_lo, s9
	s_and_not1_b32 exec_lo, exec_lo, s9
	s_cbranch_execnz .LBB0_14
.LBB0_15:
	s_endpgm
	.section	.rodata,"a",@progbits
	.p2align	6, 0x0
	.amdhsa_kernel _Z24groupnorm_forward_kernelPKfS0_S0_PfS1_S1_iiiii
		.amdhsa_group_segment_fixed_size 256
		.amdhsa_private_segment_fixed_size 0
		.amdhsa_kernarg_size 328
		.amdhsa_user_sgpr_count 2
		.amdhsa_user_sgpr_dispatch_ptr 0
		.amdhsa_user_sgpr_queue_ptr 0
		.amdhsa_user_sgpr_kernarg_segment_ptr 1
		.amdhsa_user_sgpr_dispatch_id 0
		.amdhsa_user_sgpr_kernarg_preload_length 0
		.amdhsa_user_sgpr_kernarg_preload_offset 0
		.amdhsa_user_sgpr_private_segment_size 0
		.amdhsa_wavefront_size32 1
		.amdhsa_uses_dynamic_stack 0
		.amdhsa_enable_private_segment 0
		.amdhsa_system_sgpr_workgroup_id_x 1
		.amdhsa_system_sgpr_workgroup_id_y 0
		.amdhsa_system_sgpr_workgroup_id_z 0
		.amdhsa_system_sgpr_workgroup_info 0
		.amdhsa_system_vgpr_workitem_id 0
		.amdhsa_next_free_vgpr 13
		.amdhsa_next_free_sgpr 27
		.amdhsa_named_barrier_count 0
		.amdhsa_reserve_vcc 1
		.amdhsa_float_round_mode_32 0
		.amdhsa_float_round_mode_16_64 0
		.amdhsa_float_denorm_mode_32 3
		.amdhsa_float_denorm_mode_16_64 3
		.amdhsa_fp16_overflow 0
		.amdhsa_memory_ordered 1
		.amdhsa_forward_progress 1
		.amdhsa_inst_pref_size 13
		.amdhsa_round_robin_scheduling 0
		.amdhsa_exception_fp_ieee_invalid_op 0
		.amdhsa_exception_fp_denorm_src 0
		.amdhsa_exception_fp_ieee_div_zero 0
		.amdhsa_exception_fp_ieee_overflow 0
		.amdhsa_exception_fp_ieee_underflow 0
		.amdhsa_exception_fp_ieee_inexact 0
		.amdhsa_exception_int_div_zero 0
	.end_amdhsa_kernel
	.text
.Lfunc_end0:
	.size	_Z24groupnorm_forward_kernelPKfS0_S0_PfS1_S1_iiiii, .Lfunc_end0-_Z24groupnorm_forward_kernelPKfS0_S0_PfS1_S1_iiiii
                                        ; -- End function
	.set _Z24groupnorm_forward_kernelPKfS0_S0_PfS1_S1_iiiii.num_vgpr, 13
	.set _Z24groupnorm_forward_kernelPKfS0_S0_PfS1_S1_iiiii.num_agpr, 0
	.set _Z24groupnorm_forward_kernelPKfS0_S0_PfS1_S1_iiiii.numbered_sgpr, 27
	.set _Z24groupnorm_forward_kernelPKfS0_S0_PfS1_S1_iiiii.num_named_barrier, 0
	.set _Z24groupnorm_forward_kernelPKfS0_S0_PfS1_S1_iiiii.private_seg_size, 0
	.set _Z24groupnorm_forward_kernelPKfS0_S0_PfS1_S1_iiiii.uses_vcc, 1
	.set _Z24groupnorm_forward_kernelPKfS0_S0_PfS1_S1_iiiii.uses_flat_scratch, 0
	.set _Z24groupnorm_forward_kernelPKfS0_S0_PfS1_S1_iiiii.has_dyn_sized_stack, 0
	.set _Z24groupnorm_forward_kernelPKfS0_S0_PfS1_S1_iiiii.has_recursion, 0
	.set _Z24groupnorm_forward_kernelPKfS0_S0_PfS1_S1_iiiii.has_indirect_call, 0
	.section	.AMDGPU.csdata,"",@progbits
; Kernel info:
; codeLenInByte = 1580
; TotalNumSgprs: 29
; NumVgprs: 13
; ScratchSize: 0
; MemoryBound: 0
; FloatMode: 240
; IeeeMode: 1
; LDSByteSize: 256 bytes/workgroup (compile time only)
; SGPRBlocks: 0
; VGPRBlocks: 0
; NumSGPRsForWavesPerEU: 29
; NumVGPRsForWavesPerEU: 13
; NamedBarCnt: 0
; Occupancy: 16
; WaveLimiterHint : 0
; COMPUTE_PGM_RSRC2:SCRATCH_EN: 0
; COMPUTE_PGM_RSRC2:USER_SGPR: 2
; COMPUTE_PGM_RSRC2:TRAP_HANDLER: 0
; COMPUTE_PGM_RSRC2:TGID_X_EN: 1
; COMPUTE_PGM_RSRC2:TGID_Y_EN: 0
; COMPUTE_PGM_RSRC2:TGID_Z_EN: 0
; COMPUTE_PGM_RSRC2:TIDIG_COMP_CNT: 0
	.text
	.protected	_Z25groupnorm_forward_kernel2PKfS0_S0_PfS1_S1_iiiii ; -- Begin function _Z25groupnorm_forward_kernel2PKfS0_S0_PfS1_S1_iiiii
	.globl	_Z25groupnorm_forward_kernel2PKfS0_S0_PfS1_S1_iiiii
	.p2align	8
	.type	_Z25groupnorm_forward_kernel2PKfS0_S0_PfS1_S1_iiiii,@function
_Z25groupnorm_forward_kernel2PKfS0_S0_PfS1_S1_iiiii: ; @_Z25groupnorm_forward_kernel2PKfS0_S0_PfS1_S1_iiiii
; %bb.0:
	s_clause 0x1
	s_load_b96 s[12:14], s[0:1], 0x38
	s_load_b32 s4, s[0:1], 0x54
	s_bfe_u32 s6, ttmp6, 0x4000c
	s_and_b32 s5, ttmp6, 15
	s_add_co_i32 s6, s6, 1
	s_load_b64 s[16:17], s[0:1], 0x0
	s_mul_i32 s6, ttmp9, s6
	v_mov_b64_e32 v[2:3], 0
	s_add_co_i32 s5, s5, s6
	s_mov_b32 s3, 0
	s_delay_alu instid0(SALU_CYCLE_1) | instskip(SKIP_4) | instid1(SALU_CYCLE_2)
	s_mov_b32 s19, s3
	s_mov_b32 s23, s3
	s_wait_kmcnt 0x0
	s_cvt_f32_u32 s2, s14
	s_mul_i32 s15, s13, s12
	v_rcp_iflag_f32_e32 v1, s2
	s_getreg_b32 s2, hwreg(HW_REG_IB_STS2, 6, 4)
	s_delay_alu instid0(SALU_CYCLE_1) | instskip(SKIP_3) | instid1(TRANS32_DEP_1)
	s_cmp_eq_u32 s2, 0
	s_cselect_b32 s2, ttmp9, s5
	s_and_b32 s24, s4, 0xffff
	v_nop
	v_readfirstlane_b32 s6, v1
	s_mul_i32 s22, s15, s2
	s_mul_f32 s5, s6, 0x4f7ffffe
	s_ashr_i32 s6, s15, 31
	s_delay_alu instid0(SALU_CYCLE_1) | instskip(NEXT) | instid1(SALU_CYCLE_1)
	s_lshr_b32 s4, s6, 30
	s_cvt_u32_f32 s5, s5
	s_sub_co_i32 s6, 0, s14
	s_add_co_i32 s4, s15, s4
	s_delay_alu instid0(SALU_CYCLE_1) | instskip(SKIP_1) | instid1(SALU_CYCLE_1)
	s_ashr_i32 s25, s4, 2
	s_mul_i32 s6, s6, s5
	s_mul_hi_u32 s4, s5, s6
	s_mov_b32 s6, exec_lo
	s_add_co_i32 s18, s5, s4
	v_cmpx_gt_i32_e64 s25, v0
	s_cbranch_execz .LBB1_4
; %bb.1:
	v_dual_mov_b32 v3, 0 :: v_dual_lshlrev_b32 v2, 4, v0
	s_lshl_b64 s[4:5], s[22:23], 2
	v_mov_b32_e32 v1, v0
	s_add_nc_u64 s[4:5], s[16:17], s[4:5]
	s_mov_b32 s7, s3
	v_add_nc_u64_e32 v[8:9], s[4:5], v[2:3]
	v_dual_mov_b32 v2, v3 :: v_dual_mov_b32 v4, v3
	v_dual_mov_b32 v5, v3 :: v_dual_mov_b32 v6, v3
	v_mov_b32_e32 v7, v3
	s_lshl_b32 s4, s24, 4
	s_delay_alu instid0(VALU_DEP_4)
	v_add_nc_u64_e32 v[10:11], 8, v[8:9]
	v_dual_mov_b32 v8, v3 :: v_dual_mov_b32 v9, v3
	s_mov_b32 s5, s3
.LBB1_2:                                ; =>This Inner Loop Header: Depth=1
	global_load_b128 v[12:15], v[10:11], off offset:-8
	v_add_nc_u32_e32 v1, s24, v1
	s_wait_xcnt 0x0
	v_add_nc_u64_e32 v[10:11], s[4:5], v[10:11]
	s_wait_loadcnt 0x0
	v_pk_mul_f32 v[16:17], v[12:13], v[12:13]
	v_pk_mul_f32 v[18:19], v[14:15], v[14:15]
	v_dual_mov_b32 v20, v12 :: v_dual_mov_b32 v12, v14
	v_cmp_le_i32_e32 vcc_lo, s25, v1
	s_delay_alu instid0(VALU_DEP_4) | instskip(NEXT) | instid1(VALU_DEP_4)
	v_dual_mov_b32 v21, v16 :: v_dual_mov_b32 v16, v13
	v_dual_mov_b32 v13, v18 :: v_dual_mov_b32 v18, v15
	s_or_b32 s7, vcc_lo, s7
	s_delay_alu instid0(VALU_DEP_2) | instskip(NEXT) | instid1(VALU_DEP_3)
	v_pk_add_f32 v[2:3], v[2:3], v[20:21]
	v_pk_add_f32 v[4:5], v[4:5], v[16:17]
	s_delay_alu instid0(VALU_DEP_3)
	v_pk_add_f32 v[6:7], v[6:7], v[12:13]
	v_pk_add_f32 v[8:9], v[8:9], v[18:19]
	s_and_not1_b32 exec_lo, exec_lo, s7
	s_cbranch_execnz .LBB1_2
; %bb.3:
	s_or_b32 exec_lo, exec_lo, s7
	v_pk_add_f32 v[2:3], v[2:3], v[4:5]
	s_delay_alu instid0(VALU_DEP_1) | instskip(NEXT) | instid1(VALU_DEP_1)
	v_pk_add_f32 v[2:3], v[2:3], v[6:7]
	v_pk_add_f32 v[2:3], v[2:3], v[8:9]
.LBB1_4:
	s_or_b32 exec_lo, exec_lo, s6
	s_clause 0x1
	s_load_b256 s[4:11], s[0:1], 0x8
	s_load_b64 s[20:21], s[0:1], 0x28
	v_lshl_add_u32 v1, s25, 2, v0
	s_wait_xcnt 0x0
	s_mul_u64 s[0:1], s[2:3], s[18:19]
	s_lshl_b64 s[18:19], s[22:23], 2
	s_mov_b32 s0, exec_lo
	s_add_nc_u64 s[16:17], s[16:17], s[18:19]
	v_cmpx_gt_i32_e64 s15, v1
	s_cbranch_execz .LBB1_8
; %bb.5:
	s_mov_b32 s22, 0
.LBB1_6:                                ; =>This Inner Loop Header: Depth=1
	global_load_b32 v4, v1, s[16:17] scale_offset
	s_wait_loadcnt 0x0
	v_dual_add_nc_u32 v1, s24, v1 :: v_dual_mul_f32 v5, v4, v4
	s_delay_alu instid0(VALU_DEP_1) | instskip(NEXT) | instid1(VALU_DEP_2)
	v_cmp_le_i32_e32 vcc_lo, s15, v1
	v_pk_add_f32 v[2:3], v[2:3], v[4:5]
	s_or_b32 s22, vcc_lo, s22
	s_delay_alu instid0(SALU_CYCLE_1)
	s_and_not1_b32 exec_lo, exec_lo, s22
	s_cbranch_execnz .LBB1_6
; %bb.7:
	s_or_b32 exec_lo, exec_lo, s22
.LBB1_8:
	s_delay_alu instid0(SALU_CYCLE_1) | instskip(SKIP_2) | instid1(VALU_DEP_1)
	s_or_b32 exec_lo, exec_lo, s0
	v_mbcnt_lo_u32_b32 v7, -1, 0
	s_lshr_b32 s0, s24, 5
	v_xor_b32_e32 v4, 8, v7
	v_xor_b32_e32 v1, 16, v7
	;; [unrolled: 1-line block ×3, first 2 shown]
	s_delay_alu instid0(VALU_DEP_2) | instskip(SKIP_3) | instid1(VALU_DEP_1)
	v_cmp_gt_i32_e32 vcc_lo, 32, v1
	v_cndmask_b32_e32 v1, v7, v1, vcc_lo
	v_cmp_gt_i32_e32 vcc_lo, 32, v4
	v_cndmask_b32_e32 v4, v7, v4, vcc_lo
	v_dual_lshlrev_b32 v4, 2, v4 :: v_dual_lshlrev_b32 v1, 2, v1
	ds_bpermute_b32 v6, v1, v3
	s_wait_dscnt 0x0
	v_add_f32_e32 v3, v3, v6
	ds_bpermute_b32 v5, v1, v2
	ds_bpermute_b32 v8, v4, v3
	s_wait_dscnt 0x0
	v_dual_add_f32 v2, v2, v5 :: v_dual_add_f32 v3, v3, v8
	ds_bpermute_b32 v6, v4, v2
	s_wait_dscnt 0x0
	v_dual_add_f32 v2, v2, v6 :: v_dual_bitop2_b32 v5, 4, v7 bitop3:0x14
	s_delay_alu instid0(VALU_DEP_1) | instskip(SKIP_1) | instid1(VALU_DEP_1)
	v_cmp_gt_i32_e32 vcc_lo, 32, v5
	v_dual_cndmask_b32 v5, v7, v5, vcc_lo :: v_dual_bitop2_b32 v6, 2, v7 bitop3:0x14
	v_cmp_gt_i32_e32 vcc_lo, 32, v6
	s_delay_alu instid0(VALU_DEP_2)
	v_lshlrev_b32_e32 v5, 2, v5
	ds_bpermute_b32 v8, v5, v2
	ds_bpermute_b32 v9, v5, v3
	v_cndmask_b32_e32 v6, v7, v6, vcc_lo
	v_cmp_gt_i32_e32 vcc_lo, 32, v10
	s_wait_dscnt 0x1
	s_delay_alu instid0(VALU_DEP_2)
	v_dual_add_f32 v2, v2, v8 :: v_dual_lshlrev_b32 v6, 2, v6
	s_wait_dscnt 0x0
	v_add_f32_e32 v3, v3, v9
	ds_bpermute_b32 v8, v6, v2
	ds_bpermute_b32 v9, v6, v3
	v_dual_cndmask_b32 v7, v7, v10 :: v_dual_lshrrev_b32 v10, 3, v0
	s_delay_alu instid0(VALU_DEP_1) | instskip(SKIP_1) | instid1(VALU_DEP_2)
	v_and_b32_e32 v10, 0x7c, v10
	s_wait_dscnt 0x1
	v_dual_add_f32 v2, v2, v8 :: v_dual_lshlrev_b32 v7, 2, v7
	s_wait_dscnt 0x0
	v_add_f32_e32 v3, v3, v9
	ds_bpermute_b32 v8, v7, v2
	ds_bpermute_b32 v9, v7, v3
	v_and_b32_e32 v11, 31, v0
	s_wait_dscnt 0x1
	v_dual_add_f32 v12, v2, v8 :: v_dual_mov_b32 v2, 0
	s_wait_dscnt 0x0
	v_dual_add_f32 v9, v3, v9 :: v_dual_mov_b32 v3, 0
	v_lshlrev_b32_e32 v8, 2, v11
	v_cmp_gt_u32_e32 vcc_lo, s0, v11
	ds_store_2addr_b32 v10, v12, v9 offset1:32
	s_wait_dscnt 0x0
	s_barrier_signal -1
	s_barrier_wait -1
	s_and_saveexec_b32 s0, vcc_lo
; %bb.9:
	ds_load_b32 v3, v8
; %bb.10:
	s_or_b32 exec_lo, exec_lo, s0
	s_and_saveexec_b32 s0, vcc_lo
; %bb.11:
	ds_load_b32 v2, v8 offset:128
; %bb.12:
	s_or_b32 exec_lo, exec_lo, s0
	s_wait_dscnt 0x0
	ds_bpermute_b32 v9, v1, v3
	ds_bpermute_b32 v8, v1, v2
	s_cvt_f32_i32 s22, s15
	s_wait_kmcnt 0x0
	s_cmp_lg_u64 s[10:11], 0
	s_wait_dscnt 0x0
	v_pk_add_f32 v[2:3], v[2:3], v[8:9]
	ds_bpermute_b32 v9, v4, v3
	ds_bpermute_b32 v8, v4, v2
	s_wait_dscnt 0x0
	v_pk_add_f32 v[2:3], v[2:3], v[8:9]
	ds_bpermute_b32 v9, v5, v3
	ds_bpermute_b32 v8, v5, v2
	;; [unrolled: 4-line block ×4, first 2 shown]
	s_wait_dscnt 0x0
	v_pk_add_f32 v[2:3], v[2:3], v[4:5]
	s_delay_alu instid0(VALU_DEP_1) | instskip(NEXT) | instid1(VALU_DEP_2)
	v_div_scale_f32 v1, null, s22, s22, v3
	v_div_scale_f32 v4, null, s22, s22, v2
	v_div_scale_f32 v9, vcc_lo, v3, s22, v3
	s_delay_alu instid0(VALU_DEP_3) | instskip(NEXT) | instid1(VALU_DEP_2)
	v_rcp_f32_e32 v5, v1
	v_rcp_f32_e32 v6, v4
	s_delay_alu instid0(TRANS32_DEP_2) | instskip(NEXT) | instid1(TRANS32_DEP_1)
	v_fma_f32 v7, -v1, v5, 1.0
	v_fma_f32 v8, -v4, v6, 1.0
	s_delay_alu instid0(VALU_DEP_1) | instskip(SKIP_1) | instid1(VALU_DEP_1)
	v_dual_fmac_f32 v5, v7, v5 :: v_dual_fmac_f32 v6, v8, v6
	v_div_scale_f32 v7, s0, v2, s22, v2
	v_dual_mul_f32 v8, v9, v5 :: v_dual_mul_f32 v10, v7, v6
	s_delay_alu instid0(VALU_DEP_1) | instskip(NEXT) | instid1(VALU_DEP_1)
	v_dual_fma_f32 v11, -v1, v8, v9 :: v_dual_fma_f32 v12, -v4, v10, v7
	v_dual_fmac_f32 v8, v11, v5 :: v_dual_fmac_f32 v10, v12, v6
	s_delay_alu instid0(VALU_DEP_1) | instskip(NEXT) | instid1(VALU_DEP_1)
	v_dual_fma_f32 v1, -v1, v8, v9 :: v_dual_fma_f32 v4, -v4, v10, v7
	v_div_fmas_f32 v1, v1, v5, v8
	s_mov_b32 vcc_lo, s0
	s_cselect_b32 s0, -1, 0
	s_delay_alu instid0(VALU_DEP_2) | instskip(SKIP_2) | instid1(VALU_DEP_3)
	v_div_fmas_f32 v4, v4, v6, v10
	v_cmp_eq_u32_e32 vcc_lo, 0, v0
	v_div_fixup_f32 v1, v1, s22, v3
	v_div_fixup_f32 v2, v4, s22, v2
	s_and_b32 s22, vcc_lo, s0
	s_delay_alu instid0(SALU_CYCLE_1)
	s_and_saveexec_b32 s0, s22
	s_cbranch_execz .LBB1_14
; %bb.13:
	v_mov_b32_e32 v3, 0
	s_lshl_b64 s[22:23], s[2:3], 2
	s_delay_alu instid0(SALU_CYCLE_1)
	s_add_nc_u64 s[10:11], s[10:11], s[22:23]
	global_store_b32 v3, v1, s[10:11]
.LBB1_14:
	s_wait_xcnt 0x0
	s_or_b32 exec_lo, exec_lo, s0
	v_fma_f32 v2, -v1, v1, v2
	s_cmp_lg_u64 s[20:21], 0
	s_delay_alu instid0(VALU_DEP_1) | instskip(NEXT) | instid1(VALU_DEP_1)
	v_add_f32_e32 v2, 0x3727c5ac, v2
	v_mul_f32_e32 v3, 0x4b800000, v2
	v_cmp_gt_f32_e64 s0, 0x800000, v2
	s_delay_alu instid0(VALU_DEP_1) | instskip(NEXT) | instid1(VALU_DEP_1)
	v_cndmask_b32_e64 v2, v2, v3, s0
	v_rsq_f32_e32 v2, v2
	v_nop
	s_delay_alu instid0(TRANS32_DEP_1) | instskip(NEXT) | instid1(VALU_DEP_1)
	v_mul_f32_e32 v3, 0x45800000, v2
	v_cndmask_b32_e64 v4, v2, v3, s0
	s_cselect_b32 s0, -1, 0
	s_delay_alu instid0(SALU_CYCLE_1) | instskip(NEXT) | instid1(SALU_CYCLE_1)
	s_and_b32 s10, vcc_lo, s0
	s_and_saveexec_b32 s0, s10
	s_cbranch_execz .LBB1_16
; %bb.15:
	v_mov_b32_e32 v2, 0
	s_lshl_b64 s[10:11], s[2:3], 2
	s_delay_alu instid0(SALU_CYCLE_1)
	s_add_nc_u64 s[10:11], s[20:21], s[10:11]
	global_store_b32 v2, v4, s[10:11]
.LBB1_16:
	s_wait_xcnt 0x0
	s_or_b32 exec_lo, exec_lo, s0
	s_delay_alu instid0(SALU_CYCLE_1)
	s_mov_b32 s0, exec_lo
	v_cmpx_gt_i32_e64 s15, v0
	s_cbranch_execz .LBB1_19
; %bb.17:
	s_mul_i32 s0, s1, s14
	v_mov_b32_e32 v3, 0
	s_sub_co_i32 s0, s2, s0
	s_mov_b32 s3, 0
	s_sub_co_i32 s1, s0, s14
	s_cmp_ge_u32 s0, s14
	s_cselect_b32 s0, s1, s0
	s_delay_alu instid0(SALU_CYCLE_1) | instskip(SKIP_3) | instid1(SALU_CYCLE_1)
	s_sub_co_i32 s1, s0, s14
	s_cmp_ge_u32 s0, s14
	s_cselect_b32 s2, s1, s0
	s_abs_i32 s10, s12
	s_cvt_f32_u32 s0, s10
	s_delay_alu instid0(SALU_CYCLE_3) | instskip(SKIP_3) | instid1(SALU_CYCLE_1)
	v_rcp_iflag_f32_e32 v2, s0
	s_add_nc_u64 s[0:1], s[8:9], s[18:19]
	s_ashr_i32 s8, s12, 31
	s_mul_i32 s12, s2, s13
	s_ashr_i32 s13, s12, 31
	v_nop
	s_delay_alu instid0(TRANS32_DEP_1) | instskip(SKIP_1) | instid1(SALU_CYCLE_1)
	v_readfirstlane_b32 s11, v2
	s_lshl_b64 s[12:13], s[12:13], 2
	s_add_nc_u64 s[4:5], s[4:5], s[12:13]
	s_add_nc_u64 s[6:7], s[6:7], s[12:13]
	s_mul_f32 s9, s11, 0x4f7ffffe
	s_delay_alu instid0(SALU_CYCLE_3) | instskip(SKIP_1) | instid1(SALU_CYCLE_2)
	s_cvt_u32_f32 s2, s9
	s_sub_co_i32 s9, 0, s10
	s_mul_i32 s9, s9, s2
	s_delay_alu instid0(SALU_CYCLE_1) | instskip(NEXT) | instid1(SALU_CYCLE_1)
	s_mul_hi_u32 s9, s2, s9
	s_add_co_i32 s2, s2, s9
	s_mov_b32 s9, s3
.LBB1_18:                               ; =>This Inner Loop Header: Depth=1
	v_sub_nc_u32_e32 v2, 0, v0
	s_delay_alu instid0(VALU_DEP_1) | instskip(NEXT) | instid1(VALU_DEP_1)
	v_max_i32_e32 v2, v0, v2
	v_mul_u64_e32 v[6:7], s[2:3], v[2:3]
	s_delay_alu instid0(VALU_DEP_1) | instskip(NEXT) | instid1(VALU_DEP_1)
	v_mul_lo_u32 v5, v7, s10
	v_dual_add_nc_u32 v6, 1, v7 :: v_dual_sub_nc_u32 v2, v2, v5
	s_delay_alu instid0(VALU_DEP_1) | instskip(NEXT) | instid1(VALU_DEP_2)
	v_cmp_le_u32_e32 vcc_lo, s10, v2
	v_cndmask_b32_e32 v6, v7, v6, vcc_lo
	v_subrev_nc_u32_e32 v5, s10, v2
	s_delay_alu instid0(VALU_DEP_1) | instskip(NEXT) | instid1(VALU_DEP_3)
	v_dual_cndmask_b32 v2, v2, v5 :: v_dual_ashrrev_i32 v7, 31, v0
	v_add_nc_u32_e32 v5, 1, v6
	s_delay_alu instid0(VALU_DEP_2) | instskip(NEXT) | instid1(VALU_DEP_2)
	v_cmp_le_u32_e32 vcc_lo, s10, v2
	v_dual_cndmask_b32 v2, v6, v5, vcc_lo :: v_dual_bitop2_b32 v7, s8, v7 bitop3:0x14
	global_load_b32 v5, v0, s[16:17] scale_offset
	v_xor_b32_e32 v2, v2, v7
	s_delay_alu instid0(VALU_DEP_1)
	v_sub_nc_u32_e32 v2, v2, v7
	s_clause 0x1
	global_load_b32 v6, v2, s[4:5] scale_offset
	global_load_b32 v7, v2, s[6:7] scale_offset
	s_wait_loadcnt 0x2
	s_wait_xcnt 0x0
	v_sub_f32_e32 v2, v5, v1
	s_delay_alu instid0(VALU_DEP_1) | instskip(SKIP_1) | instid1(VALU_DEP_1)
	v_mul_f32_e32 v2, v4, v2
	s_wait_loadcnt 0x0
	v_fmac_f32_e32 v7, v6, v2
	global_store_b32 v0, v7, s[0:1] scale_offset
	s_wait_xcnt 0x0
	v_add_nc_u32_e32 v0, s24, v0
	s_delay_alu instid0(VALU_DEP_1) | instskip(SKIP_1) | instid1(SALU_CYCLE_1)
	v_cmp_le_i32_e32 vcc_lo, s15, v0
	s_or_b32 s9, vcc_lo, s9
	s_and_not1_b32 exec_lo, exec_lo, s9
	s_cbranch_execnz .LBB1_18
.LBB1_19:
	s_endpgm
	.section	.rodata,"a",@progbits
	.p2align	6, 0x0
	.amdhsa_kernel _Z25groupnorm_forward_kernel2PKfS0_S0_PfS1_S1_iiiii
		.amdhsa_group_segment_fixed_size 256
		.amdhsa_private_segment_fixed_size 0
		.amdhsa_kernarg_size 328
		.amdhsa_user_sgpr_count 2
		.amdhsa_user_sgpr_dispatch_ptr 0
		.amdhsa_user_sgpr_queue_ptr 0
		.amdhsa_user_sgpr_kernarg_segment_ptr 1
		.amdhsa_user_sgpr_dispatch_id 0
		.amdhsa_user_sgpr_kernarg_preload_length 0
		.amdhsa_user_sgpr_kernarg_preload_offset 0
		.amdhsa_user_sgpr_private_segment_size 0
		.amdhsa_wavefront_size32 1
		.amdhsa_uses_dynamic_stack 0
		.amdhsa_enable_private_segment 0
		.amdhsa_system_sgpr_workgroup_id_x 1
		.amdhsa_system_sgpr_workgroup_id_y 0
		.amdhsa_system_sgpr_workgroup_id_z 0
		.amdhsa_system_sgpr_workgroup_info 0
		.amdhsa_system_vgpr_workitem_id 0
		.amdhsa_next_free_vgpr 22
		.amdhsa_next_free_sgpr 26
		.amdhsa_named_barrier_count 0
		.amdhsa_reserve_vcc 1
		.amdhsa_float_round_mode_32 0
		.amdhsa_float_round_mode_16_64 0
		.amdhsa_float_denorm_mode_32 3
		.amdhsa_float_denorm_mode_16_64 3
		.amdhsa_fp16_overflow 0
		.amdhsa_memory_ordered 1
		.amdhsa_forward_progress 1
		.amdhsa_inst_pref_size 15
		.amdhsa_round_robin_scheduling 0
		.amdhsa_exception_fp_ieee_invalid_op 0
		.amdhsa_exception_fp_denorm_src 0
		.amdhsa_exception_fp_ieee_div_zero 0
		.amdhsa_exception_fp_ieee_overflow 0
		.amdhsa_exception_fp_ieee_underflow 0
		.amdhsa_exception_fp_ieee_inexact 0
		.amdhsa_exception_int_div_zero 0
	.end_amdhsa_kernel
	.text
.Lfunc_end1:
	.size	_Z25groupnorm_forward_kernel2PKfS0_S0_PfS1_S1_iiiii, .Lfunc_end1-_Z25groupnorm_forward_kernel2PKfS0_S0_PfS1_S1_iiiii
                                        ; -- End function
	.set _Z25groupnorm_forward_kernel2PKfS0_S0_PfS1_S1_iiiii.num_vgpr, 22
	.set _Z25groupnorm_forward_kernel2PKfS0_S0_PfS1_S1_iiiii.num_agpr, 0
	.set _Z25groupnorm_forward_kernel2PKfS0_S0_PfS1_S1_iiiii.numbered_sgpr, 26
	.set _Z25groupnorm_forward_kernel2PKfS0_S0_PfS1_S1_iiiii.num_named_barrier, 0
	.set _Z25groupnorm_forward_kernel2PKfS0_S0_PfS1_S1_iiiii.private_seg_size, 0
	.set _Z25groupnorm_forward_kernel2PKfS0_S0_PfS1_S1_iiiii.uses_vcc, 1
	.set _Z25groupnorm_forward_kernel2PKfS0_S0_PfS1_S1_iiiii.uses_flat_scratch, 0
	.set _Z25groupnorm_forward_kernel2PKfS0_S0_PfS1_S1_iiiii.has_dyn_sized_stack, 0
	.set _Z25groupnorm_forward_kernel2PKfS0_S0_PfS1_S1_iiiii.has_recursion, 0
	.set _Z25groupnorm_forward_kernel2PKfS0_S0_PfS1_S1_iiiii.has_indirect_call, 0
	.section	.AMDGPU.csdata,"",@progbits
; Kernel info:
; codeLenInByte = 1856
; TotalNumSgprs: 28
; NumVgprs: 22
; ScratchSize: 0
; MemoryBound: 0
; FloatMode: 240
; IeeeMode: 1
; LDSByteSize: 256 bytes/workgroup (compile time only)
; SGPRBlocks: 0
; VGPRBlocks: 1
; NumSGPRsForWavesPerEU: 28
; NumVGPRsForWavesPerEU: 22
; NamedBarCnt: 0
; Occupancy: 16
; WaveLimiterHint : 0
; COMPUTE_PGM_RSRC2:SCRATCH_EN: 0
; COMPUTE_PGM_RSRC2:USER_SGPR: 2
; COMPUTE_PGM_RSRC2:TRAP_HANDLER: 0
; COMPUTE_PGM_RSRC2:TGID_X_EN: 1
; COMPUTE_PGM_RSRC2:TGID_Y_EN: 0
; COMPUTE_PGM_RSRC2:TGID_Z_EN: 0
; COMPUTE_PGM_RSRC2:TIDIG_COMP_CNT: 0
	.text
	.protected	_Z25groupnorm_backward_kernelPKfS0_S0_S0_S0_PfS1_S1_iiiii ; -- Begin function _Z25groupnorm_backward_kernelPKfS0_S0_S0_S0_PfS1_S1_iiiii
	.globl	_Z25groupnorm_backward_kernelPKfS0_S0_S0_S0_PfS1_S1_iiiii
	.p2align	8
	.type	_Z25groupnorm_backward_kernelPKfS0_S0_S0_S0_PfS1_S1_iiiii,@function
_Z25groupnorm_backward_kernelPKfS0_S0_S0_S0_PfS1_S1_iiiii: ; @_Z25groupnorm_backward_kernelPKfS0_S0_S0_S0_PfS1_S1_iiiii
; %bb.0:
	s_clause 0x2
	s_load_b96 s[12:14], s[0:1], 0x48
	s_load_b32 s2, s[0:1], 0x64
	s_load_b256 s[4:11], s[0:1], 0x0
	s_bfe_u32 s16, ttmp6, 0x4000c
	s_and_b32 s15, ttmp6, 15
	s_add_co_i32 s16, s16, 1
	s_getreg_b32 s17, hwreg(HW_REG_IB_STS2, 6, 4)
	s_mul_i32 s16, ttmp9, s16
	v_mov_b32_e32 v3, 0
	s_add_co_i32 s15, s15, s16
	s_mov_b32 s19, 0
	s_delay_alu instid0(VALU_DEP_1)
	v_mov_b32_e32 v2, v3
	s_wait_kmcnt 0x0
	s_cvt_f32_u32 s3, s14
	s_sub_co_i32 s18, 0, s14
	s_and_b32 s26, s2, 0xffff
	s_mul_i32 s30, s13, s12
	v_rcp_iflag_f32_e32 v1, s3
	v_cmp_gt_i32_e32 vcc_lo, s30, v0
	s_delay_alu instid0(TRANS32_DEP_1) | instskip(SKIP_1) | instid1(SALU_CYCLE_3)
	v_readfirstlane_b32 s3, v1
	s_mul_f32 s3, s3, 0x4f7ffffe
	s_cvt_u32_f32 s3, s3
	s_delay_alu instid0(SALU_CYCLE_3) | instskip(NEXT) | instid1(SALU_CYCLE_1)
	s_mul_i32 s18, s18, s3
	s_mul_hi_u32 s16, s3, s18
	s_delay_alu instid0(SALU_CYCLE_1) | instskip(SKIP_3) | instid1(SALU_CYCLE_1)
	s_add_co_i32 s16, s3, s16
	s_cmp_eq_u32 s17, 0
	s_load_b64 s[2:3], s[0:1], 0x20
	s_cselect_b32 s15, ttmp9, s15
	s_mul_hi_u32 s16, s15, s16
	s_load_b32 s27, s[8:9], s15 offset:0x0 scale_offset
	s_mul_i32 s16, s16, s14
	s_load_b32 s28, s[10:11], s15 offset:0x0 scale_offset
	s_wait_xcnt 0x0
	s_sub_co_i32 s8, s15, s16
	s_mul_i32 s18, s30, s15
	s_sub_co_i32 s9, s8, s14
	s_cmp_ge_u32 s8, s14
	s_cselect_b32 s8, s9, s8
	s_delay_alu instid0(SALU_CYCLE_1)
	s_sub_co_i32 s9, s8, s14
	s_cmp_ge_u32 s8, s14
	s_cselect_b32 s8, s9, s8
	s_lshl_b64 s[24:25], s[18:19], 2
	s_mul_i32 s8, s8, s13
	s_add_nc_u64 s[14:15], s[4:5], s[24:25]
	s_ashr_i32 s9, s8, 31
	s_add_nc_u64 s[16:17], s[6:7], s[24:25]
	s_lshl_b64 s[20:21], s[8:9], 2
	s_wait_kmcnt 0x0
	s_add_nc_u64 s[22:23], s[2:3], s[20:21]
	s_and_saveexec_b32 s3, vcc_lo
	s_cbranch_execz .LBB2_4
; %bb.1:
	s_abs_i32 s10, s12
	v_mov_b32_e32 v5, 0
	s_cvt_f32_u32 s2, s10
	s_sub_co_i32 s8, 0, s10
	s_ashr_i32 s11, s12, 31
	s_mov_b32 s9, s19
	v_rcp_iflag_f32_e32 v1, s2
	s_mov_b32 s29, s19
	v_nop
	s_delay_alu instid0(TRANS32_DEP_1) | instskip(SKIP_3) | instid1(SALU_CYCLE_3)
	v_readfirstlane_b32 s2, v1
	v_dual_mov_b32 v1, v0 :: v_dual_mov_b32 v2, v5
	v_mov_b32_e32 v3, v5
	s_mul_f32 s2, s2, 0x4f7ffffe
	s_cvt_u32_f32 s2, s2
	s_delay_alu instid0(SALU_CYCLE_3) | instskip(NEXT) | instid1(SALU_CYCLE_1)
	s_mul_i32 s8, s8, s2
	s_mul_hi_u32 s8, s2, s8
	s_delay_alu instid0(SALU_CYCLE_1)
	s_add_co_i32 s8, s2, s8
.LBB2_2:                                ; =>This Inner Loop Header: Depth=1
	v_dual_mov_b32 v9, s28 :: v_dual_sub_nc_u32 v4, 0, v1
	s_delay_alu instid0(VALU_DEP_1) | instskip(NEXT) | instid1(VALU_DEP_1)
	v_max_i32_e32 v4, v1, v4
	v_mul_u64_e32 v[6:7], s[8:9], v[4:5]
	s_delay_alu instid0(VALU_DEP_1) | instskip(NEXT) | instid1(VALU_DEP_1)
	v_mul_lo_u32 v6, v7, s10
	v_dual_add_nc_u32 v8, 1, v7 :: v_dual_sub_nc_u32 v4, v4, v6
	s_delay_alu instid0(VALU_DEP_1) | instskip(NEXT) | instid1(VALU_DEP_1)
	v_cmp_le_u32_e64 s2, s10, v4
	v_cndmask_b32_e64 v7, v7, v8, s2
	v_subrev_nc_u32_e32 v6, s10, v4
	s_delay_alu instid0(VALU_DEP_1) | instskip(NEXT) | instid1(VALU_DEP_3)
	v_dual_ashrrev_i32 v8, 31, v1 :: v_dual_cndmask_b32 v4, v4, v6, s2
	v_add_nc_u32_e32 v6, 1, v7
	s_delay_alu instid0(VALU_DEP_2) | instskip(NEXT) | instid1(VALU_DEP_1)
	v_cmp_le_u32_e64 s2, s10, v4
	v_dual_cndmask_b32 v4, v7, v6, s2 :: v_dual_bitop2_b32 v8, s11, v8 bitop3:0x14
	s_clause 0x1
	global_load_b32 v6, v1, s[14:15] scale_offset
	global_load_b32 v7, v1, s[16:17] scale_offset
	s_wait_xcnt 0x0
	v_dual_add_nc_u32 v1, s26, v1 :: v_dual_bitop2_b32 v4, v4, v8 bitop3:0x14
	s_delay_alu instid0(VALU_DEP_1) | instskip(NEXT) | instid1(VALU_DEP_2)
	v_cmp_le_i32_e64 s2, s30, v1
	v_sub_nc_u32_e32 v4, v4, v8
	s_or_b32 s29, s2, s29
	s_wait_loadcnt 0x0
	v_subrev_f32_e32 v7, s27, v7
	global_load_b32 v8, v4, s[22:23] scale_offset
	s_wait_loadcnt 0x0
	v_pk_mul_f32 v[6:7], v[8:9], v[6:7]
	s_delay_alu instid0(VALU_DEP_1) | instskip(NEXT) | instid1(VALU_DEP_1)
	v_mov_b32_e32 v4, v7
	v_pk_mul_f32 v[8:9], v[6:7], v[4:5]
	v_mov_b32_e32 v9, v6
	s_delay_alu instid0(VALU_DEP_1)
	v_pk_add_f32 v[2:3], v[2:3], v[8:9]
	s_and_not1_b32 exec_lo, exec_lo, s29
	s_cbranch_execnz .LBB2_2
; %bb.3:
	s_or_b32 exec_lo, exec_lo, s29
.LBB2_4:
	s_delay_alu instid0(SALU_CYCLE_1)
	s_or_b32 exec_lo, exec_lo, s3
	v_mbcnt_lo_u32_b32 v1, -1, 0
	s_clause 0x1
	s_load_b128 s[8:11], s[0:1], 0x28
	s_load_b64 s[2:3], s[0:1], 0x38
	v_dual_lshrrev_b32 v21, 5, v0 :: v_dual_bitop2_b32 v20, 31, v0 bitop3:0x40
	s_lshr_b32 s29, s26, 5
	v_xor_b32_e32 v6, 8, v1
	v_xor_b32_e32 v4, 16, v1
	s_delay_alu instid0(VALU_DEP_3) | instskip(SKIP_1) | instid1(VALU_DEP_2)
	v_lshlrev_b32_e32 v19, 2, v21
	s_wait_xcnt 0x0
	v_cmp_gt_i32_e64 s0, 32, v4
	s_delay_alu instid0(VALU_DEP_1) | instskip(SKIP_1) | instid1(VALU_DEP_1)
	v_cndmask_b32_e64 v4, v1, v4, s0
	v_cmp_gt_i32_e64 s0, 32, v6
	v_cndmask_b32_e64 v6, v1, v6, s0
	s_delay_alu instid0(VALU_DEP_1)
	v_dual_lshlrev_b32 v15, 2, v6 :: v_dual_lshlrev_b32 v14, 2, v4
	ds_bpermute_b32 v4, v14, v3
	s_wait_dscnt 0x0
	v_add_f32_e32 v3, v3, v4
	ds_bpermute_b32 v5, v14, v2
	ds_bpermute_b32 v4, v15, v3
	s_wait_dscnt 0x0
	v_dual_add_f32 v3, v3, v4 :: v_dual_bitop2_b32 v6, 4, v1 bitop3:0x14
	s_delay_alu instid0(VALU_DEP_1) | instskip(NEXT) | instid1(VALU_DEP_1)
	v_cmp_gt_i32_e64 s0, 32, v6
	v_dual_add_f32 v2, v2, v5 :: v_dual_cndmask_b32 v6, v1, v6, s0
	ds_bpermute_b32 v5, v15, v2
	v_dual_lshlrev_b32 v16, 2, v6 :: v_dual_bitop2_b32 v6, 2, v1 bitop3:0x14
	s_delay_alu instid0(VALU_DEP_1)
	v_cmp_gt_i32_e64 s0, 32, v6
	s_wait_dscnt 0x0
	v_add_f32_e32 v2, v2, v5
	ds_bpermute_b32 v4, v16, v3
	ds_bpermute_b32 v5, v16, v2
	s_wait_dscnt 0x1
	v_dual_cndmask_b32 v6, v1, v6, s0 :: v_dual_add_f32 v3, v3, v4
	s_wait_dscnt 0x0
	s_delay_alu instid0(VALU_DEP_1) | instskip(SKIP_4) | instid1(VALU_DEP_1)
	v_dual_add_f32 v2, v2, v5 :: v_dual_lshlrev_b32 v17, 2, v6
	v_xor_b32_e32 v6, 1, v1
	ds_bpermute_b32 v4, v17, v3
	ds_bpermute_b32 v5, v17, v2
	v_cmp_gt_i32_e64 s0, 32, v6
	v_cndmask_b32_e64 v1, v1, v6, s0
	v_cmp_gt_u32_e64 s0, s29, v20
	s_wait_dscnt 0x0
	v_add_f32_e32 v2, v2, v5
	s_delay_alu instid0(VALU_DEP_3)
	v_dual_add_f32 v1, v3, v4 :: v_dual_lshlrev_b32 v18, 2, v1
	v_mov_b32_e32 v5, 0
	ds_bpermute_b32 v4, v18, v2
	ds_bpermute_b32 v3, v18, v1
	s_wait_dscnt 0x0
	v_dual_add_f32 v1, v1, v3 :: v_dual_add_f32 v3, v2, v4
	v_dual_mov_b32 v4, 0 :: v_dual_lshlrev_b32 v2, 2, v20
	ds_store_2addr_b32 v19, v1, v3 offset1:32
	s_wait_dscnt 0x0
	s_barrier_signal -1
	s_barrier_wait -1
	s_and_saveexec_b32 s1, s0
; %bb.5:
	ds_load_b32 v4, v2
; %bb.6:
	s_or_b32 exec_lo, exec_lo, s1
	s_and_saveexec_b32 s1, s0
; %bb.7:
	ds_load_b32 v5, v2 offset:128
; %bb.8:
	s_or_b32 exec_lo, exec_lo, s1
	s_wait_dscnt 0x0
	ds_bpermute_b32 v6, v14, v4
	ds_bpermute_b32 v7, v14, v5
	s_wait_dscnt 0x0
	v_pk_add_f32 v[4:5], v[4:5], v[6:7]
	ds_bpermute_b32 v6, v15, v4
	ds_bpermute_b32 v7, v15, v5
	s_wait_dscnt 0x0
	v_pk_add_f32 v[4:5], v[4:5], v[6:7]
	;; [unrolled: 4-line block ×4, first 2 shown]
	ds_bpermute_b32 v6, v18, v4
	ds_bpermute_b32 v7, v18, v5
	s_and_saveexec_b32 s31, vcc_lo
	s_cbranch_execz .LBB2_11
; %bb.9:
	s_wait_dscnt 0x0
	v_pk_add_f32 v[6:7], v[4:5], v[6:7]
	s_cvt_f32_i32 s36, s30
	s_abs_i32 s34, s12
	s_abs_i32 s35, s13
	s_cvt_f32_u32 s0, s34
	v_div_scale_f32 v1, null, s36, s36, v7
	v_div_scale_f32 v3, null, s36, s36, v6
	s_delay_alu instid0(SALU_CYCLE_1) | instskip(NEXT) | instid1(VALU_DEP_2)
	v_rcp_iflag_f32_e32 v10, s0
	v_rcp_f32_e32 v4, v1
	s_cvt_f32_u32 s1, s35
	s_delay_alu instid0(VALU_DEP_1) | instskip(SKIP_1) | instid1(SALU_CYCLE_1)
	v_rcp_f32_e32 v8, v3
	v_div_scale_f32 v9, vcc_lo, v7, s36, v7
	v_rcp_iflag_f32_e32 v12, s1
	s_wait_kmcnt 0x0
	s_add_nc_u64 s[8:9], s[8:9], s[24:25]
	v_fma_f32 v5, -v1, v4, 1.0
	v_div_scale_f32 v13, s0, v6, s36, v6
	v_fma_f32 v11, -v3, v8, 1.0
	v_readfirstlane_b32 s24, v10
	s_delay_alu instid0(VALU_DEP_4)
	v_dual_fmac_f32 v4, v5, v4 :: v_dual_mov_b32 v5, 0
	v_readfirstlane_b32 s25, v12
	s_sub_co_i32 s37, 0, s34
	s_mul_f32 s24, s24, 0x4f7ffffe
	v_mul_f32_e32 v10, v9, v4
	v_fmac_f32_e32 v8, v11, v8
	s_mul_f32 s25, s25, 0x4f7ffffe
	s_cvt_u32_f32 s24, s24
	s_sub_co_i32 s38, 0, s35
	v_fma_f32 v12, -v1, v10, v9
	v_mul_f32_e32 v11, v13, v8
	s_cvt_u32_f32 s25, s25
	s_mul_i32 s37, s37, s24
	s_mov_b32 s1, 0
	s_ashr_i32 s33, s12, 31
	v_fma_f32 v22, -v3, v11, v13
	s_mul_i32 s38, s38, s25
	s_delay_alu instid0(VALU_DEP_1) | instskip(NEXT) | instid1(VALU_DEP_1)
	v_fmac_f32_e32 v11, v22, v8
	v_dual_fmac_f32 v10, v12, v4 :: v_dual_fma_f32 v3, -v3, v11, v13
	s_delay_alu instid0(VALU_DEP_1) | instskip(NEXT) | instid1(VALU_DEP_1)
	v_fma_f32 v1, -v1, v10, v9
	v_div_fmas_f32 v1, v1, v4, v10
	s_mov_b32 vcc_lo, s0
	s_mul_hi_u32 s0, s24, s37
	v_div_fmas_f32 v3, v3, v8, v11
	s_mul_hi_u32 s37, s25, s38
	v_div_fixup_f32 v1, v1, s36, v7
	s_add_co_i32 s0, s24, s0
	s_add_co_i32 s24, s25, s37
	v_div_fixup_f32 v6, v3, s36, v6
	v_mov_b32_e32 v3, v0
	s_mov_b32 s25, s1
	s_mov_b32 s36, s1
.LBB2_10:                               ; =>This Inner Loop Header: Depth=1
	s_delay_alu instid0(VALU_DEP_1) | instskip(NEXT) | instid1(VALU_DEP_1)
	v_sub_nc_u32_e32 v4, 0, v3
	v_max_i32_e32 v4, v3, v4
	s_delay_alu instid0(VALU_DEP_1) | instskip(NEXT) | instid1(VALU_DEP_1)
	v_mul_u64_e32 v[8:9], s[0:1], v[4:5]
	v_mul_lo_u32 v7, v9, s34
	s_delay_alu instid0(VALU_DEP_1) | instskip(NEXT) | instid1(VALU_DEP_1)
	v_dual_add_nc_u32 v8, 1, v9 :: v_dual_sub_nc_u32 v4, v4, v7
	v_cmp_le_u32_e32 vcc_lo, s34, v4
	s_delay_alu instid0(VALU_DEP_2) | instskip(SKIP_2) | instid1(VALU_DEP_2)
	v_cndmask_b32_e32 v8, v9, v8, vcc_lo
	v_subrev_nc_u32_e32 v7, s34, v4
	v_ashrrev_i32_e32 v9, 31, v3
	v_dual_cndmask_b32 v4, v4, v7 :: v_dual_add_nc_u32 v7, 1, v8
	s_delay_alu instid0(VALU_DEP_1) | instskip(NEXT) | instid1(VALU_DEP_2)
	v_cmp_le_u32_e32 vcc_lo, s34, v4
	v_dual_cndmask_b32 v4, v8, v7, vcc_lo :: v_dual_bitop2_b32 v9, s33, v9 bitop3:0x14
	s_delay_alu instid0(VALU_DEP_1) | instskip(NEXT) | instid1(VALU_DEP_1)
	v_xor_b32_e32 v4, v4, v9
	v_sub_nc_u32_e32 v7, v4, v9
	s_delay_alu instid0(VALU_DEP_1) | instskip(NEXT) | instid1(VALU_DEP_1)
	v_sub_nc_u32_e32 v4, 0, v7
	v_max_i32_e32 v4, v7, v4
	s_delay_alu instid0(VALU_DEP_1) | instskip(NEXT) | instid1(VALU_DEP_1)
	v_mul_u64_e32 v[8:9], s[24:25], v[4:5]
	v_mul_lo_u32 v8, v9, s35
	s_delay_alu instid0(VALU_DEP_1) | instskip(SKIP_1) | instid1(VALU_DEP_2)
	v_dual_mov_b32 v9, s28 :: v_dual_sub_nc_u32 v4, v4, v8
	v_ashrrev_i32_e32 v7, 31, v7
	v_subrev_nc_u32_e32 v8, s35, v4
	v_cmp_le_u32_e32 vcc_lo, s35, v4
	s_delay_alu instid0(VALU_DEP_2) | instskip(NEXT) | instid1(VALU_DEP_1)
	v_cndmask_b32_e32 v4, v4, v8, vcc_lo
	v_subrev_nc_u32_e32 v8, s35, v4
	v_cmp_le_u32_e32 vcc_lo, s35, v4
	s_delay_alu instid0(VALU_DEP_2) | instskip(SKIP_4) | instid1(VALU_DEP_1)
	v_cndmask_b32_e32 v4, v4, v8, vcc_lo
	s_clause 0x1
	global_load_b32 v8, v3, s[14:15] scale_offset
	global_load_b32 v11, v3, s[16:17] scale_offset
	v_xor_b32_e32 v4, v4, v7
	v_sub_nc_u32_e32 v4, v4, v7
	global_load_b32 v10, v4, s[22:23] scale_offset
	s_wait_loadcnt 0x1
	v_subrev_f32_e32 v11, s27, v11
	s_wait_loadcnt 0x0
	s_delay_alu instid0(VALU_DEP_1) | instskip(SKIP_1) | instid1(VALU_DEP_1)
	v_pk_mul_f32 v[8:9], v[8:9], v[10:11]
	s_wait_xcnt 0x0
	v_sub_f32_e32 v4, v8, v6
	s_delay_alu instid0(VALU_DEP_1) | instskip(NEXT) | instid1(VALU_DEP_1)
	v_fma_f32 v4, -v9, v1, v4
	v_mul_f32_e32 v4, s28, v4
	global_store_b32 v3, v4, s[8:9] scale_offset
	s_wait_xcnt 0x0
	v_add_nc_u32_e32 v3, s26, v3
	s_delay_alu instid0(VALU_DEP_1) | instskip(SKIP_1) | instid1(SALU_CYCLE_1)
	v_cmp_le_i32_e32 vcc_lo, s30, v3
	s_or_b32 s36, vcc_lo, s36
	s_and_not1_b32 exec_lo, exec_lo, s36
	s_cbranch_execnz .LBB2_10
.LBB2_11:
	s_or_b32 exec_lo, exec_lo, s31
	s_cvt_f32_u32 s0, s26
	s_sub_co_i32 s1, 0, s26
	v_or_b32_e32 v1, 0x80, v19
	s_wait_kmcnt 0x0
	s_add_nc_u64 s[8:9], s[10:11], s[20:21]
	v_rcp_iflag_f32_e32 v3, s0
	s_add_nc_u64 s[10:11], s[2:3], s[20:21]
	v_nop
	s_delay_alu instid0(TRANS32_DEP_1) | instskip(SKIP_1) | instid1(SALU_CYCLE_3)
	v_readfirstlane_b32 s0, v3
	s_mul_f32 s0, s0, 0x4f7ffffe
	s_cvt_u32_f32 s0, s0
	s_delay_alu instid0(SALU_CYCLE_3) | instskip(NEXT) | instid1(SALU_CYCLE_1)
	s_mul_i32 s1, s1, s0
	s_mul_hi_u32 s1, s0, s1
	s_delay_alu instid0(SALU_CYCLE_1) | instskip(NEXT) | instid1(SALU_CYCLE_1)
	s_add_co_i32 s0, s0, s1
	s_mul_hi_u32 s0, s12, s0
	s_delay_alu instid0(SALU_CYCLE_1) | instskip(NEXT) | instid1(SALU_CYCLE_1)
	s_mul_i32 s0, s0, s26
	s_sub_co_i32 s0, s12, s0
	s_delay_alu instid0(SALU_CYCLE_1) | instskip(SKIP_2) | instid1(SALU_CYCLE_1)
	s_sub_co_i32 s1, s0, s26
	s_cmp_ge_u32 s0, s26
	s_cselect_b32 s0, s1, s0
	s_sub_co_i32 s1, s0, s26
	s_cmp_ge_u32 s0, s26
	s_cselect_b32 s0, s1, s0
	s_delay_alu instid0(SALU_CYCLE_1)
	s_cmp_lg_u32 s0, 0
	s_cbranch_scc0 .LBB2_23
; %bb.12:
	s_cvt_f32_u32 s0, s29
	s_sub_co_i32 s1, 0, s29
	s_add_co_i32 s2, s13, s29
	s_delay_alu instid0(SALU_CYCLE_1) | instskip(SKIP_4) | instid1(TRANS32_DEP_1)
	s_add_co_i32 s2, s2, -1
	v_rcp_iflag_f32_e32 v3, s0
	s_abs_i32 s3, s2
	s_ashr_i32 s2, s2, 31
	v_nop
	v_readfirstlane_b32 s0, v3
	s_mul_f32 s0, s0, 0x4f7ffffe
	s_delay_alu instid0(SALU_CYCLE_3) | instskip(NEXT) | instid1(SALU_CYCLE_3)
	s_cvt_u32_f32 s0, s0
	s_mul_i32 s1, s1, s0
	s_delay_alu instid0(SALU_CYCLE_1) | instskip(NEXT) | instid1(SALU_CYCLE_1)
	s_mul_hi_u32 s1, s0, s1
	s_add_co_i32 s0, s0, s1
	s_delay_alu instid0(SALU_CYCLE_1) | instskip(NEXT) | instid1(SALU_CYCLE_1)
	s_mul_hi_u32 s0, s3, s0
	s_mul_i32 s1, s0, s29
	s_delay_alu instid0(SALU_CYCLE_1)
	s_sub_co_i32 s1, s3, s1
	s_add_co_i32 s3, s0, 1
	s_sub_co_i32 s20, s1, s29
	s_cmp_ge_u32 s1, s29
	s_cselect_b32 s0, s3, s0
	s_cselect_b32 s1, s20, s1
	s_add_co_i32 s3, s0, 1
	s_cmp_ge_u32 s1, s29
	s_cselect_b32 s0, s3, s0
	s_delay_alu instid0(SALU_CYCLE_1) | instskip(NEXT) | instid1(SALU_CYCLE_1)
	s_xor_b32 s0, s0, s2
	s_sub_co_i32 s2, s0, s2
	s_delay_alu instid0(SALU_CYCLE_1)
	s_cmp_lt_i32 s2, 1
	s_cbranch_scc1 .LBB2_22
; %bb.13:
	v_mov_b32_e32 v3, 0
	v_cmp_eq_u32_e64 s0, 0, v20
	s_mov_b32 s3, 0
	v_cmp_gt_i32_e32 vcc_lo, s12, v20
	s_wait_dscnt 0x0
	v_lshl_add_u64 v[6:7], s[18:19], 2, v[2:3]
	v_mul_lo_u32 v2, s12, v21
	s_delay_alu instid0(VALU_DEP_2)
	v_add_nc_u64_e32 v[4:5], s[6:7], v[6:7]
	v_add_nc_u64_e32 v[6:7], s[4:5], v[6:7]
	s_mul_i32 s4, s12, s29
	s_branch .LBB2_15
.LBB2_14:                               ;   in Loop: Header=BB2_15 Depth=1
	s_wait_xcnt 0x0
	s_or_b32 exec_lo, exec_lo, s5
	v_add_nc_u32_e32 v2, s4, v2
	s_add_co_i32 s3, s3, 1
	s_delay_alu instid0(SALU_CYCLE_1)
	s_cmp_lg_u32 s3, s2
	s_cbranch_scc0 .LBB2_22
.LBB2_15:                               ; =>This Loop Header: Depth=1
                                        ;     Child Loop BB2_18 Depth 2
	v_mad_u32 v22, s3, s29, v21
	s_mov_b32 s5, exec_lo
	s_delay_alu instid0(VALU_DEP_1)
	v_cmpx_gt_i32_e64 s13, v22
	s_cbranch_execz .LBB2_14
; %bb.16:                               ;   in Loop: Header=BB2_15 Depth=1
	s_wait_dscnt 0x1
	v_mov_b32_e32 v9, 0
	s_delay_alu instid0(VALU_DEP_1)
	v_mov_b32_e32 v8, v9
	s_and_saveexec_b32 s6, vcc_lo
	s_cbranch_execz .LBB2_20
; %bb.17:                               ;   in Loop: Header=BB2_15 Depth=1
	v_dual_mov_b32 v8, 0 :: v_dual_ashrrev_i32 v3, 31, v2
	s_mov_b32 s7, 0
	s_delay_alu instid0(VALU_DEP_1) | instskip(NEXT) | instid1(VALU_DEP_2)
	v_lshlrev_b64_e32 v[12:13], 2, v[2:3]
	v_dual_mov_b32 v3, v20 :: v_dual_mov_b32 v9, v8
	s_wait_dscnt 0x0
	s_delay_alu instid0(VALU_DEP_2)
	v_add_nc_u64_e32 v[10:11], v[4:5], v[12:13]
	v_add_nc_u64_e32 v[12:13], v[6:7], v[12:13]
.LBB2_18:                               ;   Parent Loop BB2_15 Depth=1
                                        ; =>  This Inner Loop Header: Depth=2
	global_load_b32 v23, v[10:11], off
	global_load_b32 v25, v[12:13], off
	v_add_nc_u32_e32 v3, 32, v3
	s_wait_xcnt 0x1
	v_add_nc_u64_e32 v[10:11], 0x80, v[10:11]
	s_wait_xcnt 0x0
	v_add_nc_u64_e32 v[12:13], 0x80, v[12:13]
	v_cmp_le_i32_e64 s1, s12, v3
	s_or_b32 s7, s1, s7
	s_wait_loadcnt 0x1
	v_subrev_f32_e32 v23, s27, v23
	s_delay_alu instid0(VALU_DEP_1) | instskip(SKIP_1) | instid1(VALU_DEP_1)
	v_mul_f32_e32 v23, s28, v23
	s_wait_loadcnt 0x0
	v_mul_f32_e32 v24, v25, v23
	s_delay_alu instid0(VALU_DEP_1)
	v_pk_add_f32 v[8:9], v[8:9], v[24:25]
	s_and_not1_b32 exec_lo, exec_lo, s7
	s_cbranch_execnz .LBB2_18
; %bb.19:                               ;   in Loop: Header=BB2_15 Depth=1
	s_or_b32 exec_lo, exec_lo, s7
.LBB2_20:                               ;   in Loop: Header=BB2_15 Depth=1
	s_delay_alu instid0(SALU_CYCLE_1)
	s_or_b32 exec_lo, exec_lo, s6
	ds_bpermute_b32 v3, v14, v8
	s_wait_dscnt 0x1
	ds_bpermute_b32 v10, v14, v9
	s_wait_dscnt 0x0
	v_dual_add_f32 v3, v8, v3 :: v_dual_add_f32 v8, v9, v10
	ds_bpermute_b32 v9, v15, v3
	ds_bpermute_b32 v10, v15, v8
	s_wait_dscnt 0x0
	v_dual_add_f32 v3, v3, v9 :: v_dual_add_f32 v8, v8, v10
	ds_bpermute_b32 v9, v16, v3
	;; [unrolled: 4-line block ×4, first 2 shown]
	ds_bpermute_b32 v10, v18, v8
	s_and_b32 exec_lo, exec_lo, s0
	s_cbranch_execz .LBB2_14
; %bb.21:                               ;   in Loop: Header=BB2_15 Depth=1
	s_wait_dscnt 0x0
	v_dual_add_f32 v3, v3, v9 :: v_dual_add_f32 v8, v8, v10
	global_atomic_add_f32 v22, v3, s[8:9] scale_offset scope:SCOPE_DEV
	s_wait_xcnt 0x0
	global_atomic_add_f32 v22, v8, s[10:11] scale_offset scope:SCOPE_DEV
	s_branch .LBB2_14
.LBB2_22:
	s_cbranch_execz .LBB2_24
	s_branch .LBB2_47
.LBB2_23:
.LBB2_24:
	s_cmp_lt_i32 s13, 1
	s_cbranch_scc1 .LBB2_47
; %bb.25:
	s_ashr_i32 s7, s12, 31
	s_cmp_gt_u32 s26, 31
	v_cmp_gt_i32_e64 s0, s12, v0
	s_cselect_b32 s3, -1, 0
	s_add_co_i32 s2, s29, -1
	s_bfe_u32 s18, s26, 0x30005
	s_cmp_gt_u32 s2, 6
	v_cmp_eq_u32_e64 s1, 0, v20
	v_cmp_eq_u32_e64 s2, 0, v0
	s_cselect_b32 s19, -1, 0
	s_and_b32 s20, s29, 0x7f8
	v_mov_b32_e32 v4, 0
	s_mov_b32 s6, s12
	s_cmp_lg_u32 s18, 0
	s_mov_b32 s5, 0
	s_cselect_b32 s21, -1, 0
	s_lshl_b64 s[6:7], s[6:7], 2
	s_mov_b32 s4, s5
	s_branch .LBB2_27
.LBB2_26:                               ;   in Loop: Header=BB2_27 Depth=1
	s_wait_xcnt 0x0
	s_or_b32 exec_lo, exec_lo, s22
	s_add_co_i32 s4, s4, 1
	s_add_nc_u64 s[14:15], s[14:15], s[6:7]
	s_cmp_eq_u32 s4, s13
	s_add_nc_u64 s[16:17], s[16:17], s[6:7]
	s_cbranch_scc1 .LBB2_47
.LBB2_27:                               ; =>This Loop Header: Depth=1
                                        ;     Child Loop BB2_29 Depth 2
                                        ;     Child Loop BB2_37 Depth 2
	;; [unrolled: 1-line block ×3, first 2 shown]
	v_dual_mov_b32 v3, 0 :: v_dual_mov_b32 v2, 0
	s_and_saveexec_b32 s22, s0
	s_cbranch_execz .LBB2_31
; %bb.28:                               ;   in Loop: Header=BB2_27 Depth=1
	v_dual_mov_b32 v2, 0 :: v_dual_mov_b32 v5, v0
	s_mov_b32 s23, 0
	s_delay_alu instid0(VALU_DEP_1)
	v_mov_b32_e32 v3, v2
.LBB2_29:                               ;   Parent Loop BB2_27 Depth=1
                                        ; =>  This Inner Loop Header: Depth=2
	s_wait_dscnt 0x1
	global_load_b32 v6, v5, s[16:17] scale_offset
	s_wait_dscnt 0x0
	global_load_b32 v7, v5, s[14:15] scale_offset
	s_wait_xcnt 0x0
	v_add_nc_u32_e32 v5, s26, v5
	s_delay_alu instid0(VALU_DEP_1) | instskip(SKIP_3) | instid1(VALU_DEP_1)
	v_cmp_le_i32_e32 vcc_lo, s12, v5
	s_or_b32 s23, vcc_lo, s23
	s_wait_loadcnt 0x1
	v_subrev_f32_e32 v6, s27, v6
	v_mul_f32_e32 v6, s28, v6
	s_wait_loadcnt 0x0
	s_delay_alu instid0(VALU_DEP_1) | instskip(NEXT) | instid1(VALU_DEP_1)
	v_mul_f32_e32 v6, v7, v6
	v_pk_add_f32 v[2:3], v[2:3], v[6:7]
	s_and_not1_b32 exec_lo, exec_lo, s23
	s_cbranch_execnz .LBB2_29
; %bb.30:                               ;   in Loop: Header=BB2_27 Depth=1
	s_or_b32 exec_lo, exec_lo, s23
.LBB2_31:                               ;   in Loop: Header=BB2_27 Depth=1
	s_delay_alu instid0(SALU_CYCLE_1)
	s_or_b32 exec_lo, exec_lo, s22
	ds_bpermute_b32 v5, v14, v2
	s_wait_dscnt 0x2
	ds_bpermute_b32 v6, v14, v3
	s_wait_dscnt 0x0
	v_dual_add_f32 v2, v2, v5 :: v_dual_add_f32 v3, v3, v6
	ds_bpermute_b32 v5, v15, v2
	ds_bpermute_b32 v6, v15, v3
	s_wait_dscnt 0x0
	v_dual_add_f32 v2, v2, v5 :: v_dual_add_f32 v3, v3, v6
	ds_bpermute_b32 v5, v16, v2
	;; [unrolled: 4-line block ×4, first 2 shown]
	ds_bpermute_b32 v6, v18, v3
	s_and_saveexec_b32 s22, s1
	s_cbranch_execz .LBB2_33
; %bb.32:                               ;   in Loop: Header=BB2_27 Depth=1
	s_wait_dscnt 0x0
	v_dual_add_f32 v2, v2, v5 :: v_dual_add_f32 v3, v3, v6
	ds_store_b32 v19, v2
	ds_store_b32 v1, v3
.LBB2_33:                               ;   in Loop: Header=BB2_27 Depth=1
	s_or_b32 exec_lo, exec_lo, s22
	s_wait_storecnt_dscnt 0x0
	s_barrier_signal -1
	s_barrier_wait -1
	s_and_saveexec_b32 s22, s2
	s_cbranch_execz .LBB2_26
; %bb.34:                               ;   in Loop: Header=BB2_27 Depth=1
	s_and_not1_b32 vcc_lo, exec_lo, s3
	s_cbranch_vccnz .LBB2_39
; %bb.35:                               ;   in Loop: Header=BB2_27 Depth=1
	v_mov_b64_e32 v[2:3], 0
	s_and_not1_b32 vcc_lo, exec_lo, s19
	s_cbranch_vccnz .LBB2_40
; %bb.36:                               ;   in Loop: Header=BB2_27 Depth=1
	v_dual_mov_b32 v3, 0 :: v_dual_mov_b32 v2, 0
	s_mov_b32 s23, 0
	s_mov_b32 s24, 0
.LBB2_37:                               ;   Parent Loop BB2_27 Depth=1
                                        ; =>  This Inner Loop Header: Depth=2
	v_mov_b32_e32 v5, s23
	s_add_co_i32 s24, s24, 8
	s_add_co_i32 s23, s23, 32
	s_cmp_eq_u32 s20, s24
	ds_load_b128 v[6:9], v5
	ds_load_b128 v[10:13], v5 offset:128
	ds_load_b128 v[20:23], v5 offset:16
	;; [unrolled: 1-line block ×3, first 2 shown]
	s_wait_dscnt 0x2
	v_dual_mov_b32 v28, v6 :: v_dual_mov_b32 v29, v10
	v_dual_mov_b32 v10, v7 :: v_dual_mov_b32 v6, v8
	;; [unrolled: 1-line block ×3, first 2 shown]
	s_delay_alu instid0(VALU_DEP_3) | instskip(NEXT) | instid1(VALU_DEP_1)
	v_pk_add_f32 v[2:3], v[2:3], v[28:29]
	v_pk_add_f32 v[2:3], v[2:3], v[10:11]
	s_delay_alu instid0(VALU_DEP_1) | instskip(SKIP_3) | instid1(VALU_DEP_3)
	v_pk_add_f32 v[2:3], v[2:3], v[6:7]
	s_wait_dscnt 0x0
	v_dual_mov_b32 v6, v20 :: v_dual_mov_b32 v7, v24
	v_mov_b32_e32 v24, v21
	v_pk_add_f32 v[2:3], v[2:3], v[12:13]
	s_delay_alu instid0(VALU_DEP_1) | instskip(SKIP_2) | instid1(VALU_DEP_3)
	v_pk_add_f32 v[2:3], v[2:3], v[6:7]
	v_dual_mov_b32 v6, v22 :: v_dual_mov_b32 v7, v26
	v_mov_b32_e32 v26, v23
	v_pk_add_f32 v[2:3], v[2:3], v[24:25]
	s_delay_alu instid0(VALU_DEP_1) | instskip(NEXT) | instid1(VALU_DEP_1)
	v_pk_add_f32 v[2:3], v[2:3], v[6:7]
	v_pk_add_f32 v[2:3], v[2:3], v[26:27]
	s_cbranch_scc0 .LBB2_37
; %bb.38:                               ;   in Loop: Header=BB2_27 Depth=1
	s_mov_b32 s23, s20
	s_and_not1_b32 vcc_lo, exec_lo, s21
	s_cbranch_vccz .LBB2_41
	s_branch .LBB2_43
.LBB2_39:                               ;   in Loop: Header=BB2_27 Depth=1
	v_dual_mov_b32 v3, 0 :: v_dual_mov_b32 v2, 0
	s_branch .LBB2_43
.LBB2_40:                               ;   in Loop: Header=BB2_27 Depth=1
	s_mov_b32 s23, 0
	s_and_not1_b32 vcc_lo, exec_lo, s21
	s_cbranch_vccnz .LBB2_43
.LBB2_41:                               ;   in Loop: Header=BB2_27 Depth=1
	s_lshl_b32 s23, s23, 2
	s_mov_b32 s24, s18
.LBB2_42:                               ;   Parent Loop BB2_27 Depth=1
                                        ; =>  This Inner Loop Header: Depth=2
	v_mov_b32_e32 v5, s23
	s_add_co_i32 s24, s24, -1
	s_add_co_i32 s23, s23, 4
	s_cmp_lg_u32 s24, 0
	ds_load_2addr_b32 v[6:7], v5 offset1:32
	s_wait_dscnt 0x0
	v_pk_add_f32 v[2:3], v[2:3], v[6:7]
	s_cbranch_scc1 .LBB2_42
.LBB2_43:                               ;   in Loop: Header=BB2_27 Depth=1
	s_mov_b32 s24, exec_lo
	s_mov_b32 s23, exec_lo
	v_mbcnt_lo_u32_b32 v5, s24, 0
	s_delay_alu instid0(VALU_DEP_1)
	v_cmpx_eq_u32_e32 0, v5
	s_cbranch_execz .LBB2_45
; %bb.44:                               ;   in Loop: Header=BB2_27 Depth=1
	s_bcnt1_i32_b32 s24, s24
	s_delay_alu instid0(SALU_CYCLE_1) | instskip(SKIP_1) | instid1(SALU_CYCLE_1)
	v_cvt_f32_ubyte0_e32 v5, s24
	s_lshl_b64 s[24:25], s[4:5], 2
	s_add_nc_u64 s[24:25], s[8:9], s[24:25]
	s_delay_alu instid0(VALU_DEP_1)
	v_mul_f32_e32 v2, v2, v5
	global_atomic_add_f32 v4, v2, s[24:25] scope:SCOPE_DEV
.LBB2_45:                               ;   in Loop: Header=BB2_27 Depth=1
	s_wait_xcnt 0x0
	s_or_b32 exec_lo, exec_lo, s23
	s_delay_alu instid0(SALU_CYCLE_1) | instskip(NEXT) | instid1(SALU_CYCLE_1)
	s_mov_b32 s23, exec_lo
	v_mbcnt_lo_u32_b32 v2, s23, 0
	s_delay_alu instid0(VALU_DEP_1) | instskip(SKIP_1) | instid1(SALU_CYCLE_1)
	v_cmp_eq_u32_e32 vcc_lo, 0, v2
	s_and_b32 s24, exec_lo, vcc_lo
	s_mov_b32 exec_lo, s24
	s_cbranch_execz .LBB2_26
; %bb.46:                               ;   in Loop: Header=BB2_27 Depth=1
	s_bcnt1_i32_b32 s23, s23
	s_lshl_b64 s[24:25], s[4:5], 2
	v_cvt_f32_ubyte0_e32 v2, s23
	s_add_nc_u64 s[24:25], s[10:11], s[24:25]
	s_delay_alu instid0(VALU_DEP_1)
	v_mul_f32_e32 v2, v3, v2
	global_atomic_add_f32 v4, v2, s[24:25] scope:SCOPE_DEV
	s_branch .LBB2_26
.LBB2_47:
	s_endpgm
	.section	.rodata,"a",@progbits
	.p2align	6, 0x0
	.amdhsa_kernel _Z25groupnorm_backward_kernelPKfS0_S0_S0_S0_PfS1_S1_iiiii
		.amdhsa_group_segment_fixed_size 256
		.amdhsa_private_segment_fixed_size 0
		.amdhsa_kernarg_size 344
		.amdhsa_user_sgpr_count 2
		.amdhsa_user_sgpr_dispatch_ptr 0
		.amdhsa_user_sgpr_queue_ptr 0
		.amdhsa_user_sgpr_kernarg_segment_ptr 1
		.amdhsa_user_sgpr_dispatch_id 0
		.amdhsa_user_sgpr_kernarg_preload_length 0
		.amdhsa_user_sgpr_kernarg_preload_offset 0
		.amdhsa_user_sgpr_private_segment_size 0
		.amdhsa_wavefront_size32 1
		.amdhsa_uses_dynamic_stack 0
		.amdhsa_enable_private_segment 0
		.amdhsa_system_sgpr_workgroup_id_x 1
		.amdhsa_system_sgpr_workgroup_id_y 0
		.amdhsa_system_sgpr_workgroup_id_z 0
		.amdhsa_system_sgpr_workgroup_info 0
		.amdhsa_system_vgpr_workitem_id 0
		.amdhsa_next_free_vgpr 30
		.amdhsa_next_free_sgpr 39
		.amdhsa_named_barrier_count 0
		.amdhsa_reserve_vcc 1
		.amdhsa_float_round_mode_32 0
		.amdhsa_float_round_mode_16_64 0
		.amdhsa_float_denorm_mode_32 3
		.amdhsa_float_denorm_mode_16_64 3
		.amdhsa_fp16_overflow 0
		.amdhsa_memory_ordered 1
		.amdhsa_forward_progress 1
		.amdhsa_inst_pref_size 28
		.amdhsa_round_robin_scheduling 0
		.amdhsa_exception_fp_ieee_invalid_op 0
		.amdhsa_exception_fp_denorm_src 0
		.amdhsa_exception_fp_ieee_div_zero 0
		.amdhsa_exception_fp_ieee_overflow 0
		.amdhsa_exception_fp_ieee_underflow 0
		.amdhsa_exception_fp_ieee_inexact 0
		.amdhsa_exception_int_div_zero 0
	.end_amdhsa_kernel
	.text
.Lfunc_end2:
	.size	_Z25groupnorm_backward_kernelPKfS0_S0_S0_S0_PfS1_S1_iiiii, .Lfunc_end2-_Z25groupnorm_backward_kernelPKfS0_S0_S0_S0_PfS1_S1_iiiii
                                        ; -- End function
	.set _Z25groupnorm_backward_kernelPKfS0_S0_S0_S0_PfS1_S1_iiiii.num_vgpr, 30
	.set _Z25groupnorm_backward_kernelPKfS0_S0_S0_S0_PfS1_S1_iiiii.num_agpr, 0
	.set _Z25groupnorm_backward_kernelPKfS0_S0_S0_S0_PfS1_S1_iiiii.numbered_sgpr, 39
	.set _Z25groupnorm_backward_kernelPKfS0_S0_S0_S0_PfS1_S1_iiiii.num_named_barrier, 0
	.set _Z25groupnorm_backward_kernelPKfS0_S0_S0_S0_PfS1_S1_iiiii.private_seg_size, 0
	.set _Z25groupnorm_backward_kernelPKfS0_S0_S0_S0_PfS1_S1_iiiii.uses_vcc, 1
	.set _Z25groupnorm_backward_kernelPKfS0_S0_S0_S0_PfS1_S1_iiiii.uses_flat_scratch, 0
	.set _Z25groupnorm_backward_kernelPKfS0_S0_S0_S0_PfS1_S1_iiiii.has_dyn_sized_stack, 0
	.set _Z25groupnorm_backward_kernelPKfS0_S0_S0_S0_PfS1_S1_iiiii.has_recursion, 0
	.set _Z25groupnorm_backward_kernelPKfS0_S0_S0_S0_PfS1_S1_iiiii.has_indirect_call, 0
	.section	.AMDGPU.csdata,"",@progbits
; Kernel info:
; codeLenInByte = 3532
; TotalNumSgprs: 41
; NumVgprs: 30
; ScratchSize: 0
; MemoryBound: 0
; FloatMode: 240
; IeeeMode: 1
; LDSByteSize: 256 bytes/workgroup (compile time only)
; SGPRBlocks: 0
; VGPRBlocks: 1
; NumSGPRsForWavesPerEU: 41
; NumVGPRsForWavesPerEU: 30
; NamedBarCnt: 0
; Occupancy: 16
; WaveLimiterHint : 0
; COMPUTE_PGM_RSRC2:SCRATCH_EN: 0
; COMPUTE_PGM_RSRC2:USER_SGPR: 2
; COMPUTE_PGM_RSRC2:TRAP_HANDLER: 0
; COMPUTE_PGM_RSRC2:TGID_X_EN: 1
; COMPUTE_PGM_RSRC2:TGID_Y_EN: 0
; COMPUTE_PGM_RSRC2:TGID_Z_EN: 0
; COMPUTE_PGM_RSRC2:TIDIG_COMP_CNT: 0
	.text
	.p2alignl 7, 3214868480
	.fill 96, 4, 3214868480
	.section	.AMDGPU.gpr_maximums,"",@progbits
	.set amdgpu.max_num_vgpr, 0
	.set amdgpu.max_num_agpr, 0
	.set amdgpu.max_num_sgpr, 0
	.text
	.type	__hip_cuid_f3d63c2b939d1869,@object ; @__hip_cuid_f3d63c2b939d1869
	.section	.bss,"aw",@nobits
	.globl	__hip_cuid_f3d63c2b939d1869
__hip_cuid_f3d63c2b939d1869:
	.byte	0                               ; 0x0
	.size	__hip_cuid_f3d63c2b939d1869, 1

	.ident	"AMD clang version 22.0.0git (https://github.com/RadeonOpenCompute/llvm-project roc-7.2.4 26084 f58b06dce1f9c15707c5f808fd002e18c2accf7e)"
	.section	".note.GNU-stack","",@progbits
	.addrsig
	.addrsig_sym __hip_cuid_f3d63c2b939d1869
	.amdgpu_metadata
---
amdhsa.kernels:
  - .args:
      - .actual_access:  read_only
        .address_space:  global
        .offset:         0
        .size:           8
        .value_kind:     global_buffer
      - .actual_access:  read_only
        .address_space:  global
        .offset:         8
        .size:           8
        .value_kind:     global_buffer
      - .actual_access:  read_only
        .address_space:  global
        .offset:         16
        .size:           8
        .value_kind:     global_buffer
      - .actual_access:  write_only
        .address_space:  global
        .offset:         24
        .size:           8
        .value_kind:     global_buffer
      - .actual_access:  write_only
        .address_space:  global
        .offset:         32
        .size:           8
        .value_kind:     global_buffer
      - .actual_access:  write_only
        .address_space:  global
        .offset:         40
        .size:           8
        .value_kind:     global_buffer
      - .offset:         48
        .size:           4
        .value_kind:     by_value
      - .offset:         52
        .size:           4
        .value_kind:     by_value
      - .offset:         56
        .size:           4
        .value_kind:     by_value
      - .offset:         60
        .size:           4
        .value_kind:     by_value
      - .offset:         64
        .size:           4
        .value_kind:     by_value
      - .offset:         72
        .size:           4
        .value_kind:     hidden_block_count_x
      - .offset:         76
        .size:           4
        .value_kind:     hidden_block_count_y
      - .offset:         80
        .size:           4
        .value_kind:     hidden_block_count_z
      - .offset:         84
        .size:           2
        .value_kind:     hidden_group_size_x
      - .offset:         86
        .size:           2
        .value_kind:     hidden_group_size_y
      - .offset:         88
        .size:           2
        .value_kind:     hidden_group_size_z
      - .offset:         90
        .size:           2
        .value_kind:     hidden_remainder_x
      - .offset:         92
        .size:           2
        .value_kind:     hidden_remainder_y
      - .offset:         94
        .size:           2
        .value_kind:     hidden_remainder_z
      - .offset:         112
        .size:           8
        .value_kind:     hidden_global_offset_x
      - .offset:         120
        .size:           8
        .value_kind:     hidden_global_offset_y
      - .offset:         128
        .size:           8
        .value_kind:     hidden_global_offset_z
      - .offset:         136
        .size:           2
        .value_kind:     hidden_grid_dims
    .group_segment_fixed_size: 256
    .kernarg_segment_align: 8
    .kernarg_segment_size: 328
    .language:       OpenCL C
    .language_version:
      - 2
      - 0
    .max_flat_workgroup_size: 1024
    .name:           _Z24groupnorm_forward_kernelPKfS0_S0_PfS1_S1_iiiii
    .private_segment_fixed_size: 0
    .sgpr_count:     29
    .sgpr_spill_count: 0
    .symbol:         _Z24groupnorm_forward_kernelPKfS0_S0_PfS1_S1_iiiii.kd
    .uniform_work_group_size: 1
    .uses_dynamic_stack: false
    .vgpr_count:     13
    .vgpr_spill_count: 0
    .wavefront_size: 32
  - .args:
      - .actual_access:  read_only
        .address_space:  global
        .offset:         0
        .size:           8
        .value_kind:     global_buffer
      - .actual_access:  read_only
        .address_space:  global
        .offset:         8
        .size:           8
        .value_kind:     global_buffer
      - .actual_access:  read_only
        .address_space:  global
        .offset:         16
        .size:           8
        .value_kind:     global_buffer
      - .actual_access:  write_only
        .address_space:  global
        .offset:         24
        .size:           8
        .value_kind:     global_buffer
      - .actual_access:  write_only
        .address_space:  global
        .offset:         32
        .size:           8
        .value_kind:     global_buffer
      - .actual_access:  write_only
        .address_space:  global
        .offset:         40
        .size:           8
        .value_kind:     global_buffer
      - .offset:         48
        .size:           4
        .value_kind:     by_value
      - .offset:         52
        .size:           4
        .value_kind:     by_value
      - .offset:         56
        .size:           4
        .value_kind:     by_value
      - .offset:         60
        .size:           4
        .value_kind:     by_value
      - .offset:         64
        .size:           4
        .value_kind:     by_value
      - .offset:         72
        .size:           4
        .value_kind:     hidden_block_count_x
      - .offset:         76
        .size:           4
        .value_kind:     hidden_block_count_y
      - .offset:         80
        .size:           4
        .value_kind:     hidden_block_count_z
      - .offset:         84
        .size:           2
        .value_kind:     hidden_group_size_x
      - .offset:         86
        .size:           2
        .value_kind:     hidden_group_size_y
      - .offset:         88
        .size:           2
        .value_kind:     hidden_group_size_z
      - .offset:         90
        .size:           2
        .value_kind:     hidden_remainder_x
      - .offset:         92
        .size:           2
        .value_kind:     hidden_remainder_y
      - .offset:         94
        .size:           2
        .value_kind:     hidden_remainder_z
      - .offset:         112
        .size:           8
        .value_kind:     hidden_global_offset_x
      - .offset:         120
        .size:           8
        .value_kind:     hidden_global_offset_y
      - .offset:         128
        .size:           8
        .value_kind:     hidden_global_offset_z
      - .offset:         136
        .size:           2
        .value_kind:     hidden_grid_dims
    .group_segment_fixed_size: 256
    .kernarg_segment_align: 8
    .kernarg_segment_size: 328
    .language:       OpenCL C
    .language_version:
      - 2
      - 0
    .max_flat_workgroup_size: 1024
    .name:           _Z25groupnorm_forward_kernel2PKfS0_S0_PfS1_S1_iiiii
    .private_segment_fixed_size: 0
    .sgpr_count:     28
    .sgpr_spill_count: 0
    .symbol:         _Z25groupnorm_forward_kernel2PKfS0_S0_PfS1_S1_iiiii.kd
    .uniform_work_group_size: 1
    .uses_dynamic_stack: false
    .vgpr_count:     22
    .vgpr_spill_count: 0
    .wavefront_size: 32
  - .args:
      - .actual_access:  read_only
        .address_space:  global
        .offset:         0
        .size:           8
        .value_kind:     global_buffer
      - .actual_access:  read_only
        .address_space:  global
        .offset:         8
        .size:           8
        .value_kind:     global_buffer
      - .actual_access:  read_only
        .address_space:  global
        .offset:         16
        .size:           8
        .value_kind:     global_buffer
      - .actual_access:  read_only
        .address_space:  global
        .offset:         24
        .size:           8
        .value_kind:     global_buffer
      - .actual_access:  read_only
        .address_space:  global
        .offset:         32
        .size:           8
        .value_kind:     global_buffer
      - .actual_access:  write_only
        .address_space:  global
        .offset:         40
        .size:           8
        .value_kind:     global_buffer
      - .address_space:  global
        .offset:         48
        .size:           8
        .value_kind:     global_buffer
      - .address_space:  global
        .offset:         56
        .size:           8
        .value_kind:     global_buffer
      - .offset:         64
        .size:           4
        .value_kind:     by_value
      - .offset:         68
        .size:           4
        .value_kind:     by_value
      - .offset:         72
        .size:           4
        .value_kind:     by_value
      - .offset:         76
        .size:           4
        .value_kind:     by_value
      - .offset:         80
        .size:           4
        .value_kind:     by_value
      - .offset:         88
        .size:           4
        .value_kind:     hidden_block_count_x
      - .offset:         92
        .size:           4
        .value_kind:     hidden_block_count_y
      - .offset:         96
        .size:           4
        .value_kind:     hidden_block_count_z
      - .offset:         100
        .size:           2
        .value_kind:     hidden_group_size_x
      - .offset:         102
        .size:           2
        .value_kind:     hidden_group_size_y
      - .offset:         104
        .size:           2
        .value_kind:     hidden_group_size_z
      - .offset:         106
        .size:           2
        .value_kind:     hidden_remainder_x
      - .offset:         108
        .size:           2
        .value_kind:     hidden_remainder_y
      - .offset:         110
        .size:           2
        .value_kind:     hidden_remainder_z
      - .offset:         128
        .size:           8
        .value_kind:     hidden_global_offset_x
      - .offset:         136
        .size:           8
        .value_kind:     hidden_global_offset_y
      - .offset:         144
        .size:           8
        .value_kind:     hidden_global_offset_z
      - .offset:         152
        .size:           2
        .value_kind:     hidden_grid_dims
    .group_segment_fixed_size: 256
    .kernarg_segment_align: 8
    .kernarg_segment_size: 344
    .language:       OpenCL C
    .language_version:
      - 2
      - 0
    .max_flat_workgroup_size: 1024
    .name:           _Z25groupnorm_backward_kernelPKfS0_S0_S0_S0_PfS1_S1_iiiii
    .private_segment_fixed_size: 0
    .sgpr_count:     41
    .sgpr_spill_count: 0
    .symbol:         _Z25groupnorm_backward_kernelPKfS0_S0_S0_S0_PfS1_S1_iiiii.kd
    .uniform_work_group_size: 1
    .uses_dynamic_stack: false
    .vgpr_count:     30
    .vgpr_spill_count: 0
    .wavefront_size: 32
amdhsa.target:   amdgcn-amd-amdhsa--gfx1250
amdhsa.version:
  - 1
  - 2
...

	.end_amdgpu_metadata
